;; amdgpu-corpus repo=ROCm/rocFFT kind=compiled arch=gfx1201 opt=O3
	.text
	.amdgcn_target "amdgcn-amd-amdhsa--gfx1201"
	.amdhsa_code_object_version 6
	.protected	bluestein_single_back_len637_dim1_dp_op_CI_CI ; -- Begin function bluestein_single_back_len637_dim1_dp_op_CI_CI
	.globl	bluestein_single_back_len637_dim1_dp_op_CI_CI
	.p2align	8
	.type	bluestein_single_back_len637_dim1_dp_op_CI_CI,@function
bluestein_single_back_len637_dim1_dp_op_CI_CI: ; @bluestein_single_back_len637_dim1_dp_op_CI_CI
; %bb.0:
	s_load_b128 s[8:11], s[0:1], 0x28
	v_mul_u32_u24_e32 v1, 0x2d1, v0
	s_mov_b32 s2, exec_lo
	v_mov_b32_e32 v101, 0
	s_delay_alu instid0(VALU_DEP_2) | instskip(NEXT) | instid1(VALU_DEP_1)
	v_lshrrev_b32_e32 v1, 16, v1
	v_add_nc_u32_e32 v100, ttmp9, v1
	s_wait_kmcnt 0x0
	s_delay_alu instid0(VALU_DEP_1)
	v_cmpx_gt_u64_e64 s[8:9], v[100:101]
	s_cbranch_execz .LBB0_15
; %bb.1:
	s_clause 0x1
	s_load_b64 s[8:9], s[0:1], 0x0
	s_load_b64 s[12:13], s[0:1], 0x38
	v_mul_lo_u16 v1, 0x5b, v1
	s_delay_alu instid0(VALU_DEP_1) | instskip(NEXT) | instid1(VALU_DEP_1)
	v_sub_nc_u16 v0, v0, v1
	v_and_b32_e32 v246, 0xffff, v0
	v_cmp_gt_u16_e32 vcc_lo, 49, v0
	s_delay_alu instid0(VALU_DEP_2)
	v_lshlrev_b32_e32 v245, 4, v246
	s_and_saveexec_b32 s3, vcc_lo
	s_cbranch_execz .LBB0_3
; %bb.2:
	s_load_b64 s[4:5], s[0:1], 0x18
	s_wait_kmcnt 0x0
	s_load_b128 s[4:7], s[4:5], 0x0
	s_wait_kmcnt 0x0
	v_mad_co_u64_u32 v[16:17], null, s4, v246, 0
	v_mad_co_u64_u32 v[0:1], null, s6, v100, 0
	s_delay_alu instid0(VALU_DEP_2) | instskip(NEXT) | instid1(VALU_DEP_1)
	v_mov_b32_e32 v2, v17
	v_mad_co_u64_u32 v[3:4], null, s7, v100, v[1:2]
	s_delay_alu instid0(VALU_DEP_1) | instskip(SKIP_2) | instid1(VALU_DEP_2)
	v_mov_b32_e32 v1, v3
	v_mad_co_u64_u32 v[4:5], null, s5, v246, v[2:3]
	s_mul_u64 s[4:5], s[4:5], 0x310
	v_lshlrev_b64_e32 v[18:19], 4, v[0:1]
	s_delay_alu instid0(VALU_DEP_2)
	v_mov_b32_e32 v17, v4
	s_clause 0x3
	global_load_b128 v[0:3], v245, s[8:9]
	global_load_b128 v[4:7], v245, s[8:9] offset:784
	global_load_b128 v[8:11], v245, s[8:9] offset:1568
	;; [unrolled: 1-line block ×3, first 2 shown]
	v_add_co_u32 v26, s2, s10, v18
	s_delay_alu instid0(VALU_DEP_1)
	v_add_co_ci_u32_e64 v27, s2, s11, v19, s2
	v_lshlrev_b64_e32 v[24:25], 4, v[16:17]
	s_clause 0x1
	global_load_b128 v[16:19], v245, s[8:9] offset:3136
	global_load_b128 v[20:23], v245, s[8:9] offset:3920
	v_add_co_u32 v40, s2, v26, v24
	s_wait_alu 0xf1ff
	v_add_co_ci_u32_e64 v41, s2, v27, v25, s2
	s_clause 0x1
	global_load_b128 v[24:27], v245, s[8:9] offset:4704
	global_load_b128 v[28:31], v245, s[8:9] offset:5488
	s_wait_alu 0xfffe
	v_add_co_u32 v44, s2, v40, s4
	s_wait_alu 0xf1ff
	v_add_co_ci_u32_e64 v45, s2, s5, v41, s2
	s_clause 0x1
	global_load_b128 v[32:35], v245, s[8:9] offset:6272
	global_load_b128 v[36:39], v245, s[8:9] offset:7056
	v_add_co_u32 v48, s2, v44, s4
	s_wait_alu 0xf1ff
	v_add_co_ci_u32_e64 v49, s2, s5, v45, s2
	s_clause 0x1
	global_load_b128 v[40:43], v[40:41], off
	global_load_b128 v[44:47], v[44:45], off
	v_add_co_u32 v52, s2, v48, s4
	s_wait_alu 0xf1ff
	v_add_co_ci_u32_e64 v53, s2, s5, v49, s2
	s_delay_alu instid0(VALU_DEP_2) | instskip(SKIP_1) | instid1(VALU_DEP_2)
	v_add_co_u32 v56, s2, v52, s4
	s_wait_alu 0xf1ff
	v_add_co_ci_u32_e64 v57, s2, s5, v53, s2
	s_clause 0x1
	global_load_b128 v[48:51], v[48:49], off
	global_load_b128 v[52:55], v[52:53], off
	v_add_co_u32 v60, s2, v56, s4
	s_wait_alu 0xf1ff
	v_add_co_ci_u32_e64 v61, s2, s5, v57, s2
	global_load_b128 v[56:59], v[56:57], off
	v_add_co_u32 v64, s2, v60, s4
	s_wait_alu 0xf1ff
	v_add_co_ci_u32_e64 v65, s2, s5, v61, s2
	global_load_b128 v[60:63], v[60:61], off
	v_add_co_u32 v68, s2, v64, s4
	s_wait_alu 0xf1ff
	v_add_co_ci_u32_e64 v69, s2, s5, v65, s2
	global_load_b128 v[64:67], v[64:65], off
	v_add_co_u32 v72, s2, v68, s4
	s_wait_alu 0xf1ff
	v_add_co_ci_u32_e64 v73, s2, s5, v69, s2
	global_load_b128 v[68:71], v[68:69], off
	v_add_co_u32 v76, s2, v72, s4
	s_wait_alu 0xf1ff
	v_add_co_ci_u32_e64 v77, s2, s5, v73, s2
	global_load_b128 v[72:75], v[72:73], off
	v_add_co_u32 v80, s2, v76, s4
	s_wait_alu 0xf1ff
	v_add_co_ci_u32_e64 v81, s2, s5, v77, s2
	global_load_b128 v[76:79], v[76:77], off
	v_add_co_u32 v92, s2, v80, s4
	s_wait_alu 0xf1ff
	v_add_co_ci_u32_e64 v93, s2, s5, v81, s2
	global_load_b128 v[80:83], v[80:81], off
	v_add_co_u32 v101, s2, v92, s4
	s_wait_alu 0xf1ff
	v_add_co_ci_u32_e64 v102, s2, s5, v93, s2
	s_clause 0x1
	global_load_b128 v[84:87], v245, s[8:9] offset:7840
	global_load_b128 v[88:91], v245, s[8:9] offset:8624
	global_load_b128 v[92:95], v[92:93], off
	global_load_b128 v[96:99], v245, s[8:9] offset:9408
	global_load_b128 v[101:104], v[101:102], off
	s_wait_loadcnt 0xf
	v_mul_f64_e32 v[105:106], v[42:43], v[2:3]
	v_mul_f64_e32 v[2:3], v[40:41], v[2:3]
	s_wait_loadcnt 0xe
	v_mul_f64_e32 v[107:108], v[46:47], v[6:7]
	v_mul_f64_e32 v[6:7], v[44:45], v[6:7]
	;; [unrolled: 3-line block ×10, first 2 shown]
	v_fma_f64 v[38:39], v[40:41], v[0:1], v[105:106]
	v_fma_f64 v[40:41], v[42:43], v[0:1], -v[2:3]
	v_fma_f64 v[0:1], v[44:45], v[4:5], v[107:108]
	v_fma_f64 v[2:3], v[46:47], v[4:5], -v[6:7]
	s_wait_loadcnt 0x4
	v_mul_f64_e32 v[127:128], v[82:83], v[86:87]
	v_mul_f64_e32 v[86:87], v[80:81], v[86:87]
	s_wait_loadcnt 0x2
	v_mul_f64_e32 v[129:130], v[94:95], v[90:91]
	v_mul_f64_e32 v[90:91], v[92:93], v[90:91]
	;; [unrolled: 3-line block ×3, first 2 shown]
	v_fma_f64 v[4:5], v[48:49], v[8:9], v[109:110]
	v_fma_f64 v[6:7], v[50:51], v[8:9], -v[10:11]
	v_fma_f64 v[8:9], v[52:53], v[12:13], v[111:112]
	v_fma_f64 v[10:11], v[54:55], v[12:13], -v[14:15]
	;; [unrolled: 2-line block ×11, first 2 shown]
	ds_store_b128 v245, v[38:41]
	ds_store_b128 v245, v[0:3] offset:784
	ds_store_b128 v245, v[4:7] offset:1568
	;; [unrolled: 1-line block ×12, first 2 shown]
.LBB0_3:
	s_or_b32 exec_lo, exec_lo, s3
	s_clause 0x1
	s_load_b64 s[2:3], s[0:1], 0x20
	s_load_b64 s[4:5], s[0:1], 0x8
	global_wb scope:SCOPE_SE
	s_wait_dscnt 0x0
	s_wait_kmcnt 0x0
	s_barrier_signal -1
	s_barrier_wait -1
	global_inv scope:SCOPE_SE
                                        ; implicit-def: $vgpr12_vgpr13
                                        ; implicit-def: $vgpr48_vgpr49
                                        ; implicit-def: $vgpr52_vgpr53
                                        ; implicit-def: $vgpr60_vgpr61
                                        ; implicit-def: $vgpr64_vgpr65
                                        ; implicit-def: $vgpr72_vgpr73
                                        ; implicit-def: $vgpr56_vgpr57
                                        ; implicit-def: $vgpr44_vgpr45
                                        ; implicit-def: $vgpr36_vgpr37
                                        ; implicit-def: $vgpr32_vgpr33
                                        ; implicit-def: $vgpr28_vgpr29
                                        ; implicit-def: $vgpr24_vgpr25
                                        ; implicit-def: $vgpr16_vgpr17
	s_and_saveexec_b32 s0, vcc_lo
	s_cbranch_execz .LBB0_5
; %bb.4:
	ds_load_b128 v[12:15], v245
	ds_load_b128 v[48:51], v245 offset:784
	ds_load_b128 v[52:55], v245 offset:1568
	;; [unrolled: 1-line block ×12, first 2 shown]
.LBB0_5:
	s_wait_alu 0xfffe
	s_or_b32 exec_lo, exec_lo, s0
	s_wait_dscnt 0x0
	v_add_f64_e64 v[22:23], v[50:51], -v[18:19]
	v_add_f64_e64 v[20:21], v[48:49], -v[16:17]
	s_mov_b32 s24, 0x42a4c3d2
	s_mov_b32 s17, 0xbfddbe06
	;; [unrolled: 1-line block ×4, first 2 shown]
	v_add_f64_e32 v[76:77], v[48:49], v[16:17]
	v_add_f64_e32 v[78:79], v[50:51], v[18:19]
	v_add_f64_e64 v[40:41], v[54:55], -v[26:27]
	v_add_f64_e64 v[42:43], v[52:53], -v[24:25]
	s_mov_b32 s0, 0xe00740e9
	s_mov_b32 s6, 0x1ea71119
	;; [unrolled: 1-line block ×8, first 2 shown]
	v_add_f64_e64 v[70:71], v[62:63], -v[30:31]
	v_add_f64_e64 v[68:69], v[60:61], -v[28:29]
	v_add_f64_e32 v[90:91], v[52:53], v[24:25]
	v_add_f64_e32 v[94:95], v[54:55], v[26:27]
	s_mov_b32 s10, 0xebaa3ed8
	s_mov_b32 s14, 0xb2365da1
	;; [unrolled: 1-line block ×6, first 2 shown]
	v_add_f64_e64 v[221:222], v[66:67], -v[34:35]
	v_add_f64_e64 v[223:224], v[64:65], -v[32:33]
	v_add_f64_e32 v[121:122], v[60:61], v[28:29]
	v_add_f64_e32 v[123:124], v[62:63], v[30:31]
	s_mov_b32 s30, 0x24c2f84
	s_mov_b32 s18, 0x93053d00
	;; [unrolled: 1-line block ×6, first 2 shown]
	v_mul_f64_e32 v[0:1], s[16:17], v[22:23]
	v_mul_f64_e32 v[2:3], s[16:17], v[20:21]
	;; [unrolled: 1-line block ×14, first 2 shown]
	s_mov_b32 s20, s30
	s_mov_b32 s34, s22
	v_add_f64_e32 v[125:126], v[64:65], v[32:33]
	v_add_f64_e32 v[127:128], v[66:67], v[34:35]
	v_mul_f64_e32 v[96:97], s[26:27], v[70:71]
	v_mul_f64_e32 v[98:99], s[26:27], v[68:69]
	;; [unrolled: 1-line block ×4, first 2 shown]
	v_add_f64_e64 v[227:228], v[72:73], -v[36:37]
	v_add_f64_e64 v[225:226], v[74:75], -v[38:39]
	v_mul_f64_e32 v[133:134], s[34:35], v[70:71]
	v_mul_f64_e32 v[135:136], s[34:35], v[68:69]
	;; [unrolled: 1-line block ×10, first 2 shown]
	s_mov_b32 s20, 0xd0032e0c
	s_mov_b32 s21, 0xbfe7f3cc
	;; [unrolled: 1-line block ×4, first 2 shown]
	s_clause 0x1
	scratch_store_b64 off, v[0:1], off
	scratch_store_b64 off, v[2:3], off offset:8
	s_wait_alu 0xfffe
	v_fma_f64 v[0:1], v[76:77], s[0:1], v[0:1]
	v_fma_f64 v[2:3], v[78:79], s[0:1], -v[2:3]
	v_fma_f64 v[4:5], v[76:77], s[6:7], v[88:89]
	v_fma_f64 v[6:7], v[78:79], s[6:7], -v[92:93]
	;; [unrolled: 2-line block ×6, first 2 shown]
	s_mov_b32 s17, 0x3fddbe06
	v_add_f64_e32 v[157:158], v[72:73], v[36:37]
	v_add_f64_e32 v[159:160], v[74:75], v[38:39]
	v_add_f64_e64 v[247:248], v[56:57], -v[44:45]
	v_fma_f64 v[149:150], v[121:122], s[10:11], v[96:97]
	v_fma_f64 v[151:152], v[123:124], s[10:11], -v[98:99]
	v_fma_f64 v[155:156], v[121:122], s[18:19], v[103:104]
	v_fma_f64 v[165:166], v[123:124], s[18:19], -v[105:106]
	v_add_f64_e64 v[249:250], v[58:59], -v[46:47]
	v_mul_f64_e32 v[205:206], s[34:35], v[40:41]
	s_wait_alu 0xfffe
	v_mul_f64_e32 v[163:164], s[16:17], v[221:222]
	v_mul_f64_e32 v[167:168], s[16:17], v[223:224]
	v_fma_f64 v[179:180], v[121:122], s[14:15], v[133:134]
	v_fma_f64 v[183:184], v[123:124], s[14:15], -v[135:136]
	v_fma_f64 v[173:174], v[125:126], s[14:15], v[107:108]
	v_fma_f64 v[175:176], v[127:128], s[14:15], -v[109:110]
	;; [unrolled: 2-line block ×3, first 2 shown]
	v_mul_f64_e32 v[217:218], s[34:35], v[42:43]
	v_mul_f64_e32 v[189:190], s[16:17], v[70:71]
	v_fma_f64 v[199:200], v[76:77], s[20:21], v[195:196]
	v_mul_f64_e32 v[193:194], s[16:17], v[68:69]
	v_fma_f64 v[201:202], v[78:79], s[20:21], -v[213:214]
	v_fma_f64 v[203:204], v[90:91], s[20:21], v[191:192]
	v_fma_f64 v[211:212], v[94:95], s[20:21], -v[197:198]
	v_mul_f64_e32 v[177:178], s[26:27], v[221:222]
	v_add_f64_e32 v[0:1], v[12:13], v[0:1]
	v_add_f64_e32 v[2:3], v[14:15], v[2:3]
	;; [unrolled: 1-line block ×6, first 2 shown]
	v_mul_f64_e32 v[141:142], s[30:31], v[225:226]
	v_mul_f64_e32 v[143:144], s[30:31], v[227:228]
	;; [unrolled: 1-line block ×4, first 2 shown]
	v_add_f64_e32 v[207:208], v[12:13], v[169:170]
	v_add_f64_e32 v[215:216], v[14:15], v[171:172]
	;; [unrolled: 1-line block ×4, first 2 shown]
	v_mul_f64_e32 v[219:220], s[24:25], v[68:69]
	s_mov_b32 s27, 0x3fcea1e5
	s_mov_b32 s26, s28
	global_wb scope:SCOPE_SE
	s_wait_storecnt 0x0
	s_barrier_signal -1
	s_barrier_wait -1
	global_inv scope:SCOPE_SE
	v_fma_f64 v[235:236], v[125:126], s[0:1], v[163:164]
	v_fma_f64 v[237:238], v[127:128], s[0:1], -v[167:168]
	v_fma_f64 v[241:242], v[121:122], s[0:1], v[189:190]
	v_fma_f64 v[243:244], v[123:124], s[0:1], -v[193:194]
	v_add_f64_e32 v[201:202], v[14:15], v[201:202]
	v_fma_f64 v[82:83], v[125:126], s[10:11], v[177:178]
	v_add_f64_e32 v[0:1], v[8:9], v[0:1]
	v_add_f64_e32 v[2:3], v[10:11], v[2:3]
	v_fma_f64 v[8:9], v[90:91], s[18:19], v[129:130]
	v_fma_f64 v[10:11], v[94:95], s[18:19], -v[131:132]
	v_add_f64_e32 v[4:5], v[145:146], v[4:5]
	v_add_f64_e32 v[6:7], v[147:148], v[6:7]
	v_mul_f64_e32 v[145:146], s[34:35], v[225:226]
	v_mul_f64_e32 v[147:148], s[34:35], v[227:228]
	v_fma_f64 v[229:230], v[157:158], s[20:21], v[141:142]
	v_fma_f64 v[231:232], v[159:160], s[20:21], -v[143:144]
	v_add_f64_e32 v[203:204], v[203:204], v[207:208]
	v_add_f64_e32 v[211:212], v[211:212], v[215:216]
	s_wait_alu 0xfffe
	v_mul_f64_e32 v[207:208], s[26:27], v[221:222]
	v_mul_f64_e32 v[215:216], s[26:27], v[223:224]
	v_fma_f64 v[80:81], v[123:124], s[6:7], -v[219:220]
	v_add_f64_e32 v[0:1], v[149:150], v[0:1]
	v_add_f64_e32 v[2:3], v[151:152], v[2:3]
	;; [unrolled: 1-line block ×6, first 2 shown]
	v_mul_f64_e32 v[149:150], s[28:29], v[249:250]
	v_mul_f64_e32 v[161:162], s[24:25], v[225:226]
	;; [unrolled: 1-line block ×5, first 2 shown]
	v_fma_f64 v[233:234], v[157:158], s[10:11], v[145:146]
	v_fma_f64 v[239:240], v[159:160], s[10:11], -v[147:148]
	v_add_f64_e32 v[203:204], v[241:242], v[203:204]
	v_fma_f64 v[241:242], v[127:128], s[10:11], -v[181:182]
	v_add_f64_e32 v[243:244], v[243:244], v[211:212]
	s_mov_b32 s25, 0x3fea55e2
	v_mul_f64_e32 v[211:212], s[16:17], v[227:228]
	v_mul_f64_e32 v[151:152], s[28:29], v[247:248]
	v_add_f64_e32 v[0:1], v[173:174], v[0:1]
	v_add_f64_e32 v[2:3], v[175:176], v[2:3]
	;; [unrolled: 1-line block ×6, first 2 shown]
	v_fma_f64 v[185:186], v[90:91], s[10:11], v[205:206]
	v_add_f64_e32 v[187:188], v[12:13], v[199:200]
	v_fma_f64 v[199:200], v[94:95], s[10:11], -v[217:218]
	v_mul_f64_e32 v[179:180], s[26:27], v[225:226]
	v_mul_f64_e32 v[183:184], s[26:27], v[227:228]
	v_mul_f64_e32 v[173:174], s[30:31], v[249:250]
	v_mul_f64_e32 v[175:176], s[30:31], v[247:248]
	v_fma_f64 v[251:252], v[169:170], s[18:19], v[149:150]
	v_add_f64_e32 v[82:83], v[82:83], v[203:204]
	v_add_f64_e32 v[243:244], v[241:242], v[243:244]
	v_mul_f64_e32 v[203:204], s[22:23], v[247:248]
	v_mul_f64_e32 v[241:242], s[28:29], v[22:23]
	;; [unrolled: 1-line block ×3, first 2 shown]
	v_fma_f64 v[253:254], v[171:172], s[18:19], -v[151:152]
	v_add_f64_e32 v[0:1], v[229:230], v[0:1]
	v_add_f64_e32 v[2:3], v[231:232], v[2:3]
	v_fma_f64 v[229:230], v[157:158], s[6:7], v[161:162]
	v_fma_f64 v[231:232], v[159:160], s[6:7], -v[165:166]
	v_add_f64_e32 v[8:9], v[235:236], v[8:9]
	v_fma_f64 v[235:236], v[169:170], s[0:1], v[153:154]
	v_add_f64_e32 v[10:11], v[237:238], v[10:11]
	v_fma_f64 v[237:238], v[171:172], s[0:1], -v[155:156]
	v_add_f64_e32 v[4:5], v[233:234], v[4:5]
	v_add_f64_e32 v[6:7], v[239:240], v[6:7]
	v_fma_f64 v[233:234], v[121:122], s[6:7], v[209:210]
	v_add_f64_e32 v[239:240], v[185:186], v[187:188]
	v_add_f64_e32 v[199:200], v[199:200], v[201:202]
	s_wait_alu 0xfffe
	v_mul_f64_e32 v[185:186], s[24:25], v[249:250]
	v_mul_f64_e32 v[201:202], s[16:17], v[225:226]
	;; [unrolled: 1-line block ×4, first 2 shown]
	v_add_f64_e32 v[0:1], v[251:252], v[0:1]
	v_fma_f64 v[251:252], v[159:160], s[18:19], -v[183:184]
	v_add_f64_e32 v[2:3], v[253:254], v[2:3]
	v_add_f64_e32 v[8:9], v[229:230], v[8:9]
	v_fma_f64 v[229:230], v[169:170], s[20:21], v[173:174]
	v_add_f64_e32 v[10:11], v[231:232], v[10:11]
	v_fma_f64 v[231:232], v[171:172], s[20:21], -v[175:176]
	v_add_f64_e32 v[4:5], v[235:236], v[4:5]
	v_add_f64_e32 v[6:7], v[237:238], v[6:7]
	v_fma_f64 v[235:236], v[125:126], s[18:19], v[207:208]
	v_add_f64_e32 v[233:234], v[233:234], v[239:240]
	v_fma_f64 v[237:238], v[127:128], s[18:19], -v[215:216]
	v_add_f64_e32 v[80:81], v[80:81], v[199:200]
	v_fma_f64 v[239:240], v[157:158], s[18:19], v[179:180]
	v_mul_f64_e32 v[199:200], s[22:23], v[249:250]
	v_fma_f64 v[22:23], v[169:170], s[6:7], v[185:186]
	v_add_f64_e32 v[251:252], v[251:252], v[243:244]
	v_mul_f64_e32 v[243:244], s[28:29], v[20:21]
	v_add_f64_e32 v[8:9], v[229:230], v[8:9]
	v_add_f64_e32 v[10:11], v[231:232], v[10:11]
	v_fma_f64 v[231:232], v[157:158], s[0:1], v[201:202]
	v_add_f64_e32 v[229:230], v[235:236], v[233:234]
	v_fma_f64 v[233:234], v[159:160], s[0:1], -v[211:212]
	v_add_f64_e32 v[80:81], v[237:238], v[80:81]
	v_add_f64_e32 v[82:83], v[239:240], v[82:83]
	v_fma_f64 v[235:236], v[171:172], s[6:7], -v[187:188]
	v_mul_f64_e32 v[237:238], s[16:17], v[40:41]
	v_mul_f64_e32 v[239:240], s[16:17], v[42:43]
	v_fma_f64 v[40:41], v[169:170], s[14:15], v[199:200]
	v_add_f64_e32 v[42:43], v[231:232], v[229:230]
	v_fma_f64 v[229:230], v[76:77], s[18:19], v[241:242]
	v_add_f64_e32 v[80:81], v[233:234], v[80:81]
	v_fma_f64 v[231:232], v[171:172], s[14:15], -v[203:204]
	v_add_f64_e32 v[20:21], v[22:23], v[82:83]
	v_fma_f64 v[82:83], v[78:79], s[18:19], -v[243:244]
	v_add_f64_e32 v[22:23], v[235:236], v[251:252]
	v_mul_f64_e32 v[233:234], s[30:31], v[70:71]
	v_mul_f64_e32 v[235:236], s[30:31], v[68:69]
	v_fma_f64 v[68:69], v[90:91], s[0:1], v[237:238]
	v_add_f64_e32 v[40:41], v[40:41], v[42:43]
	v_add_f64_e32 v[70:71], v[12:13], v[229:230]
	v_mul_f64_e32 v[229:230], s[24:25], v[221:222]
	v_add_f64_e32 v[42:43], v[231:232], v[80:81]
	v_fma_f64 v[80:81], v[94:95], s[0:1], -v[239:240]
	v_add_f64_e32 v[82:83], v[14:15], v[82:83]
	v_mul_f64_e32 v[231:232], s[24:25], v[223:224]
	v_fma_f64 v[221:222], v[121:122], s[20:21], v[233:234]
	v_mul_f64_e32 v[223:224], s[34:35], v[247:248]
	v_add_f64_e32 v[68:69], v[68:69], v[70:71]
	v_fma_f64 v[70:71], v[123:124], s[20:21], -v[235:236]
	v_add_f64_e32 v[80:81], v[80:81], v[82:83]
	v_fma_f64 v[82:83], v[125:126], s[6:7], v[229:230]
	v_fma_f64 v[251:252], v[127:128], s[6:7], -v[231:232]
	v_add_f64_e32 v[68:69], v[221:222], v[68:69]
	v_mul_f64_e32 v[221:222], s[34:35], v[249:250]
	v_add_f64_e32 v[70:71], v[70:71], v[80:81]
	v_fma_f64 v[80:81], v[157:158], s[14:15], v[225:226]
	s_delay_alu instid0(VALU_DEP_4) | instskip(SKIP_3) | instid1(VALU_DEP_4)
	v_add_f64_e32 v[68:69], v[82:83], v[68:69]
	v_fma_f64 v[82:83], v[159:160], s[14:15], -v[227:228]
	v_fma_f64 v[247:248], v[169:170], s[10:11], v[221:222]
	v_add_f64_e32 v[70:71], v[251:252], v[70:71]
	v_add_f64_e32 v[68:69], v[80:81], v[68:69]
	v_fma_f64 v[80:81], v[171:172], s[10:11], -v[223:224]
	s_delay_alu instid0(VALU_DEP_3) | instskip(NEXT) | instid1(VALU_DEP_3)
	v_add_f64_e32 v[70:71], v[82:83], v[70:71]
	v_add_f64_e32 v[68:69], v[247:248], v[68:69]
	v_mul_lo_u16 v247, v246, 13
	s_delay_alu instid0(VALU_DEP_3)
	v_add_f64_e32 v[70:71], v[80:81], v[70:71]
	s_and_saveexec_b32 s16, vcc_lo
	s_cbranch_execz .LBB0_7
; %bb.6:
	v_add_f64_e32 v[48:49], v[12:13], v[48:49]
	v_add_f64_e32 v[50:51], v[14:15], v[50:51]
	v_mul_f64_e32 v[82:83], s[6:7], v[78:79]
	v_mul_f64_e32 v[248:249], s[6:7], v[76:77]
	;; [unrolled: 1-line block ×5, first 2 shown]
	v_add_f64_e32 v[48:49], v[48:49], v[52:53]
	v_add_f64_e32 v[50:51], v[50:51], v[54:55]
	v_mul_f64_e32 v[52:53], s[18:19], v[78:79]
	v_mul_f64_e32 v[54:55], s[18:19], v[76:77]
	v_add_f64_e32 v[82:83], v[92:93], v[82:83]
	v_add_f64_e64 v[88:89], v[248:249], -v[88:89]
	v_mul_f64_e32 v[248:249], s[14:15], v[90:91]
	v_add_f64_e64 v[80:81], v[80:81], -v[101:102]
	v_mul_f64_e32 v[92:93], s[18:19], v[90:91]
	v_mul_f64_e32 v[101:102], s[20:21], v[90:91]
	v_add_f64_e32 v[105:106], v[105:106], v[250:251]
	v_add_f64_e64 v[133:134], v[252:253], -v[133:134]
	v_add_f64_e32 v[48:49], v[48:49], v[60:61]
	v_add_f64_e32 v[50:51], v[50:51], v[62:63]
	v_mul_f64_e32 v[60:61], s[20:21], v[78:79]
	v_mul_f64_e32 v[62:63], s[14:15], v[78:79]
	v_add_f64_e32 v[52:53], v[243:244], v[52:53]
	v_mul_f64_e32 v[243:244], s[0:1], v[94:95]
	v_add_f64_e64 v[54:55], v[54:55], -v[241:242]
	v_mul_f64_e32 v[241:242], s[0:1], v[90:91]
	v_add_f64_e64 v[111:112], v[248:249], -v[111:112]
	v_add_f64_e32 v[82:83], v[14:15], v[82:83]
	v_add_f64_e32 v[88:89], v[12:13], v[88:89]
	v_add_f64_e64 v[92:93], v[92:93], -v[129:130]
	v_add_f64_e32 v[80:81], v[12:13], v[80:81]
	v_add_f64_e64 v[101:102], v[101:102], -v[191:192]
	v_mul_f64_e32 v[129:130], s[10:11], v[127:128]
	v_mul_f64_e32 v[191:192], s[18:19], v[127:128]
	v_add_f64_e32 v[48:49], v[48:49], v[64:65]
	v_add_f64_e32 v[50:51], v[50:51], v[66:67]
	v_mul_f64_e32 v[64:65], s[14:15], v[76:77]
	v_mul_f64_e32 v[66:67], s[10:11], v[78:79]
	v_add_f64_e32 v[60:61], v[213:214], v[60:61]
	v_mul_f64_e32 v[213:214], s[10:11], v[94:95]
	v_add_f64_e32 v[62:63], v[139:140], v[62:63]
	v_mul_f64_e32 v[139:140], s[10:11], v[90:91]
	v_mul_f64_e32 v[90:91], s[6:7], v[90:91]
	v_add_f64_e32 v[239:240], v[239:240], v[243:244]
	v_mul_f64_e32 v[243:244], s[14:15], v[123:124]
	v_add_f64_e64 v[237:238], v[241:242], -v[237:238]
	v_add_f64_e32 v[52:53], v[14:15], v[52:53]
	v_add_f64_e32 v[54:55], v[12:13], v[54:55]
	v_mul_f64_e32 v[241:242], s[0:1], v[121:122]
	v_add_f64_e32 v[80:81], v[92:93], v[80:81]
	v_add_f64_e32 v[129:130], v[181:182], v[129:130]
	v_mul_f64_e32 v[92:93], s[6:7], v[159:160]
	v_add_f64_e32 v[48:49], v[48:49], v[72:73]
	v_mul_f64_e32 v[72:73], s[20:21], v[76:77]
	;; [unrolled: 2-line block ×3, first 2 shown]
	v_mul_f64_e32 v[76:77], s[0:1], v[76:77]
	v_mul_f64_e32 v[78:79], s[14:15], v[94:95]
	v_add_f64_e64 v[64:65], v[64:65], -v[137:138]
	v_mul_f64_e32 v[137:138], s[20:21], v[94:95]
	v_add_f64_e32 v[66:67], v[113:114], v[66:67]
	v_mul_f64_e32 v[113:114], s[18:19], v[94:95]
	v_mul_f64_e32 v[94:95], s[6:7], v[94:95]
	v_add_f64_e32 v[213:214], v[217:218], v[213:214]
	v_mul_f64_e32 v[217:218], s[20:21], v[121:122]
	v_add_f64_e64 v[139:140], v[139:140], -v[205:206]
	v_mul_f64_e32 v[205:206], s[20:21], v[123:124]
	v_add_f64_e32 v[62:63], v[14:15], v[62:63]
	v_add_f64_e32 v[60:61], v[14:15], v[60:61]
	v_add_f64_e64 v[84:85], v[90:91], -v[84:85]
	v_mul_f64_e32 v[90:91], s[0:1], v[125:126]
	v_add_f64_e32 v[52:53], v[239:240], v[52:53]
	v_add_f64_e32 v[54:55], v[237:238], v[54:55]
	;; [unrolled: 1-line block ×3, first 2 shown]
	v_add_f64_e64 v[189:190], v[241:242], -v[189:190]
	v_add_f64_e32 v[80:81], v[133:134], v[80:81]
	v_add_f64_e32 v[92:93], v[165:166], v[92:93]
	;; [unrolled: 1-line block ×3, first 2 shown]
	v_add_f64_e64 v[72:73], v[72:73], -v[195:196]
	s_clause 0x1
	scratch_load_b64 v[195:196], off, off offset:8 th:TH_LOAD_LU
	scratch_load_b64 v[56:57], off, off th:TH_LOAD_LU
	v_add_f64_e32 v[50:51], v[50:51], v[58:59]
	v_add_f64_e32 v[78:79], v[119:120], v[78:79]
	;; [unrolled: 1-line block ×4, first 2 shown]
	v_mul_f64_e32 v[197:198], s[6:7], v[123:124]
	v_add_f64_e32 v[113:114], v[131:132], v[113:114]
	v_add_f64_e32 v[66:67], v[14:15], v[66:67]
	v_mul_f64_e32 v[58:59], s[10:11], v[121:122]
	v_add_f64_e32 v[86:87], v[86:87], v[94:95]
	v_mul_f64_e32 v[94:95], s[0:1], v[127:128]
	v_mul_f64_e32 v[119:120], s[10:11], v[125:126]
	;; [unrolled: 1-line block ×3, first 2 shown]
	v_add_f64_e32 v[205:206], v[235:236], v[205:206]
	v_add_f64_e64 v[217:218], v[217:218], -v[233:234]
	v_add_f64_e32 v[60:61], v[213:214], v[60:61]
	v_add_f64_e64 v[90:91], v[90:91], -v[163:164]
	v_add_f64_e32 v[44:45], v[48:49], v[44:45]
	v_add_f64_e32 v[72:73], v[12:13], v[72:73]
	v_mul_f64_e32 v[48:49], s[14:15], v[125:126]
	v_add_f64_e32 v[46:47], v[50:51], v[46:47]
	v_mul_f64_e32 v[50:51], s[14:15], v[127:128]
	v_add_f64_e32 v[78:79], v[78:79], v[82:83]
	v_add_f64_e32 v[62:63], v[137:138], v[62:63]
	;; [unrolled: 1-line block ×6, first 2 shown]
	v_add_f64_e64 v[58:59], v[58:59], -v[96:97]
	v_mul_f64_e32 v[113:114], s[14:15], v[157:158]
	v_mul_f64_e32 v[137:138], s[14:15], v[159:160]
	;; [unrolled: 1-line block ×3, first 2 shown]
	v_add_f64_e32 v[52:53], v[205:206], v[52:53]
	v_add_f64_e32 v[54:55], v[217:218], v[54:55]
	v_mul_f64_e32 v[111:112], s[0:1], v[159:160]
	v_add_f64_e32 v[94:95], v[167:168], v[94:95]
	v_mul_f64_e32 v[96:97], s[18:19], v[157:158]
	v_add_f64_e64 v[119:120], v[119:120], -v[177:178]
	v_mul_f64_e32 v[101:102], s[0:1], v[157:158]
	v_add_f64_e64 v[131:132], v[131:132], -v[207:208]
	v_add_f64_e32 v[36:37], v[44:45], v[36:37]
	v_add_f64_e32 v[72:73], v[139:140], v[72:73]
	;; [unrolled: 1-line block ×3, first 2 shown]
	v_mul_f64_e32 v[44:45], s[20:21], v[157:158]
	v_add_f64_e32 v[38:39], v[46:47], v[38:39]
	v_mul_f64_e32 v[46:47], s[20:21], v[159:160]
	v_add_f64_e32 v[78:79], v[105:106], v[78:79]
	v_add_f64_e32 v[50:51], v[109:110], v[50:51]
	v_add_f64_e64 v[48:49], v[48:49], -v[107:108]
	v_add_f64_e32 v[60:61], v[197:198], v[60:61]
	v_add_f64_e32 v[66:67], v[135:136], v[66:67]
	;; [unrolled: 1-line block ×3, first 2 shown]
	v_mul_f64_e32 v[105:106], s[20:21], v[171:172]
	v_add_f64_e64 v[113:114], v[113:114], -v[225:226]
	v_add_f64_e32 v[133:134], v[227:228], v[137:138]
	v_add_f64_e64 v[88:89], v[88:89], -v[161:162]
	v_mul_f64_e32 v[107:108], s[6:7], v[169:170]
	v_mul_f64_e32 v[109:110], s[6:7], v[171:172]
	v_add_f64_e32 v[111:112], v[211:212], v[111:112]
	v_add_f64_e64 v[96:97], v[96:97], -v[179:180]
	v_add_f64_e64 v[101:102], v[101:102], -v[201:202]
	v_add_f64_e32 v[32:33], v[36:37], v[32:33]
	v_mul_f64_e32 v[36:37], s[18:19], v[169:170]
	v_add_f64_e64 v[44:45], v[44:45], -v[141:142]
	v_add_f64_e32 v[34:35], v[38:39], v[34:35]
	v_mul_f64_e32 v[38:39], s[18:19], v[171:172]
	v_add_f64_e32 v[46:47], v[143:144], v[46:47]
	v_add_f64_e32 v[60:61], v[139:140], v[60:61]
	;; [unrolled: 1-line block ×6, first 2 shown]
	s_delay_alu instid0(VALU_DEP_3)
	v_add_f64_e32 v[64:65], v[96:97], v[64:65]
	s_wait_loadcnt 0x1
	v_add_f64_e32 v[74:75], v[195:196], v[74:75]
	s_wait_loadcnt 0x0
	v_add_f64_e64 v[56:57], v[76:77], -v[56:57]
	v_mul_f64_e32 v[76:77], s[10:11], v[123:124]
	v_mul_f64_e32 v[195:196], s[18:19], v[121:122]
	;; [unrolled: 1-line block ×4, first 2 shown]
	v_add_f64_e32 v[14:15], v[14:15], v[74:75]
	v_add_f64_e32 v[12:13], v[12:13], v[56:57]
	v_mul_f64_e32 v[56:57], s[20:21], v[125:126]
	v_mul_f64_e32 v[74:75], s[20:21], v[127:128]
	;; [unrolled: 1-line block ×4, first 2 shown]
	v_add_f64_e32 v[123:124], v[193:194], v[123:124]
	v_add_f64_e64 v[103:104], v[195:196], -v[103:104]
	v_add_f64_e64 v[121:122], v[121:122], -v[209:210]
	v_add_f64_e32 v[76:77], v[98:99], v[76:77]
	v_mul_f64_e32 v[98:99], s[18:19], v[159:160]
	v_add_f64_e32 v[14:15], v[86:87], v[14:15]
	v_add_f64_e32 v[12:13], v[84:85], v[12:13]
	v_mul_f64_e32 v[84:85], s[10:11], v[157:158]
	v_mul_f64_e32 v[86:87], s[10:11], v[159:160]
	v_add_f64_e64 v[125:126], v[125:126], -v[229:230]
	v_add_f64_e32 v[127:128], v[231:232], v[127:128]
	v_add_f64_e32 v[74:75], v[117:118], v[74:75]
	v_add_f64_e64 v[56:57], v[56:57], -v[115:116]
	v_add_f64_e32 v[62:63], v[123:124], v[62:63]
	v_add_f64_e32 v[82:83], v[103:104], v[82:83]
	;; [unrolled: 1-line block ×3, first 2 shown]
	v_mul_f64_e32 v[103:104], s[20:21], v[169:170]
	v_mul_f64_e32 v[121:122], s[10:11], v[169:170]
	;; [unrolled: 1-line block ×3, first 2 shown]
	v_add_f64_e32 v[98:99], v[183:184], v[98:99]
	v_mul_f64_e32 v[115:116], s[14:15], v[169:170]
	v_mul_f64_e32 v[117:118], s[14:15], v[171:172]
	v_add_f64_e32 v[14:15], v[76:77], v[14:15]
	v_add_f64_e32 v[12:13], v[58:59], v[12:13]
	v_mul_f64_e32 v[58:59], s[0:1], v[169:170]
	v_mul_f64_e32 v[76:77], s[0:1], v[171:172]
	v_add_f64_e32 v[86:87], v[147:148], v[86:87]
	v_add_f64_e64 v[84:85], v[84:85], -v[145:146]
	v_add_f64_e32 v[52:53], v[127:128], v[52:53]
	v_add_f64_e32 v[54:55], v[125:126], v[54:55]
	;; [unrolled: 1-line block ×8, first 2 shown]
	v_add_f64_e64 v[34:35], v[121:122], -v[221:222]
	v_add_f64_e32 v[90:91], v[175:176], v[105:106]
	v_add_f64_e64 v[94:95], v[103:104], -v[173:174]
	v_add_f64_e32 v[103:104], v[151:152], v[38:39]
	;; [unrolled: 2-line block ×4, first 2 shown]
	v_add_f64_e32 v[12:13], v[48:49], v[12:13]
	v_add_f64_e64 v[58:59], v[58:59], -v[153:154]
	v_add_f64_e32 v[76:77], v[155:156], v[76:77]
	v_add_f64_e32 v[48:49], v[203:204], v[117:118]
	v_add_f64_e64 v[50:51], v[115:116], -v[199:200]
	v_add_f64_e32 v[36:37], v[133:134], v[52:53]
	v_add_f64_e32 v[38:39], v[113:114], v[54:55]
	;; [unrolled: 1-line block ×25, first 2 shown]
	v_and_b32_e32 v48, 0xffff, v247
	s_delay_alu instid0(VALU_DEP_1)
	v_lshlrev_b32_e32 v48, 4, v48
	v_add_f64_e32 v[46:47], v[103:104], v[46:47]
	v_add_f64_e32 v[44:45], v[105:106], v[44:45]
	ds_store_b128 v48, v[40:43] offset:128
	ds_store_b128 v48, v[20:23] offset:144
	;; [unrolled: 1-line block ×10, first 2 shown]
	ds_store_b128 v48, v[16:19]
	ds_store_b128 v48, v[44:47] offset:16
	ds_store_b128 v48, v[0:3] offset:192
.LBB0_7:
	s_wait_alu 0xfffe
	s_or_b32 exec_lo, exec_lo, s16
	v_and_b32_e32 v12, 0xff, v246
	s_load_b128 s[0:3], s[2:3], 0x0
	global_wb scope:SCOPE_SE
	s_wait_dscnt 0x0
	s_wait_kmcnt 0x0
	s_barrier_signal -1
	s_barrier_wait -1
	v_mul_lo_u16 v12, 0x4f, v12
	global_inv scope:SCOPE_SE
	s_mov_b32 s10, 0x37e14327
	s_mov_b32 s14, 0xe976ee23
	;; [unrolled: 1-line block ×3, first 2 shown]
	v_lshrrev_b16 v96, 10, v12
	s_mov_b32 s15, 0xbfe11646
	s_mov_b32 s6, 0x429ad128
	;; [unrolled: 1-line block ×4, first 2 shown]
	v_mul_lo_u16 v12, v96, 13
	s_mov_b32 s17, 0x3fac98ee
	s_mov_b32 s18, 0xaaaaaaaa
	;; [unrolled: 1-line block ×4, first 2 shown]
	v_sub_nc_u16 v12, v246, v12
	s_mov_b32 s20, 0x5476071b
	s_mov_b32 s25, 0x3fd5d0dc
	;; [unrolled: 1-line block ×4, first 2 shown]
	v_and_b32_e32 v97, 0xff, v12
	s_mov_b32 s27, 0xbfd5d0dc
	s_wait_alu 0xfffe
	s_mov_b32 s22, s20
	s_mov_b32 s26, s24
	;; [unrolled: 1-line block ×3, first 2 shown]
	v_mul_u32_u24_e32 v12, 6, v97
	s_mov_b32 s29, 0x3fdc38aa
	s_delay_alu instid0(VALU_DEP_1)
	v_lshlrev_b32_e32 v28, 4, v12
	s_clause 0x5
	global_load_b128 v[16:19], v28, s[4:5]
	global_load_b128 v[12:15], v28, s[4:5] offset:16
	global_load_b128 v[24:27], v28, s[4:5] offset:80
	;; [unrolled: 1-line block ×5, first 2 shown]
	ds_load_b128 v[44:47], v245 offset:1456
	ds_load_b128 v[48:51], v245 offset:2912
	;; [unrolled: 1-line block ×6, first 2 shown]
	s_wait_loadcnt_dscnt 0x505
	v_mul_f64_e32 v[72:73], v[46:47], v[18:19]
	v_mul_f64_e32 v[74:75], v[44:45], v[18:19]
	s_wait_loadcnt_dscnt 0x404
	v_mul_f64_e32 v[76:77], v[50:51], v[14:15]
	v_mul_f64_e32 v[78:79], v[48:49], v[14:15]
	;; [unrolled: 3-line block ×6, first 2 shown]
	v_fma_f64 v[44:45], v[44:45], v[16:17], -v[72:73]
	v_fma_f64 v[46:47], v[46:47], v[16:17], v[74:75]
	v_fma_f64 v[48:49], v[48:49], v[12:13], -v[76:77]
	v_fma_f64 v[50:51], v[50:51], v[12:13], v[78:79]
	;; [unrolled: 2-line block ×6, first 2 shown]
	v_add_f64_e32 v[72:73], v[44:45], v[52:53]
	v_add_f64_e32 v[74:75], v[46:47], v[54:55]
	;; [unrolled: 1-line block ×4, first 2 shown]
	v_add_f64_e64 v[48:49], v[48:49], -v[56:57]
	v_add_f64_e64 v[50:51], v[50:51], -v[58:59]
	v_add_f64_e32 v[56:57], v[60:61], v[64:65]
	v_add_f64_e32 v[58:59], v[62:63], v[66:67]
	v_add_f64_e64 v[60:61], v[64:65], -v[60:61]
	v_add_f64_e64 v[62:63], v[66:67], -v[62:63]
	;; [unrolled: 1-line block ×4, first 2 shown]
	v_add_f64_e32 v[44:45], v[76:77], v[72:73]
	v_add_f64_e32 v[46:47], v[78:79], v[74:75]
	v_add_f64_e64 v[64:65], v[72:73], -v[56:57]
	v_add_f64_e64 v[66:67], v[74:75], -v[58:59]
	;; [unrolled: 1-line block ×6, first 2 shown]
	v_add_f64_e32 v[48:49], v[60:61], v[48:49]
	v_add_f64_e32 v[50:51], v[62:63], v[50:51]
	v_add_f64_e64 v[60:61], v[52:53], -v[60:61]
	v_add_f64_e64 v[62:63], v[54:55], -v[62:63]
	v_add_f64_e64 v[72:73], v[76:77], -v[72:73]
	v_add_f64_e64 v[74:75], v[78:79], -v[74:75]
	v_add_f64_e32 v[88:89], v[56:57], v[44:45]
	v_add_f64_e32 v[90:91], v[58:59], v[46:47]
	v_add_f64_e64 v[56:57], v[56:57], -v[76:77]
	v_add_f64_e64 v[58:59], v[58:59], -v[78:79]
	ds_load_b128 v[44:47], v245
	v_mul_f64_e32 v[64:65], s[10:11], v[64:65]
	v_mul_f64_e32 v[66:67], s[10:11], v[66:67]
	;; [unrolled: 1-line block ×6, first 2 shown]
	v_add_f64_e32 v[48:49], v[48:49], v[52:53]
	v_add_f64_e32 v[50:51], v[50:51], v[54:55]
	global_wb scope:SCOPE_SE
	s_wait_dscnt 0x0
	s_barrier_signal -1
	s_barrier_wait -1
	global_inv scope:SCOPE_SE
	v_add_f64_e32 v[44:45], v[44:45], v[88:89]
	v_add_f64_e32 v[46:47], v[46:47], v[90:91]
	v_mul_f64_e32 v[76:77], s[16:17], v[56:57]
	v_mul_f64_e32 v[78:79], s[16:17], v[58:59]
	v_fma_f64 v[52:53], v[56:57], s[16:17], v[64:65]
	v_fma_f64 v[54:55], v[58:59], s[16:17], v[66:67]
	;; [unrolled: 1-line block ×4, first 2 shown]
	v_fma_f64 v[80:81], v[84:85], s[6:7], -v[80:81]
	v_fma_f64 v[82:83], v[86:87], s[6:7], -v[82:83]
	s_wait_alu 0xfffe
	v_fma_f64 v[60:61], v[60:61], s[26:27], -v[92:93]
	v_fma_f64 v[62:63], v[62:63], s[26:27], -v[94:95]
	;; [unrolled: 1-line block ×4, first 2 shown]
	v_fma_f64 v[84:85], v[88:89], s[18:19], v[44:45]
	v_fma_f64 v[86:87], v[90:91], s[18:19], v[46:47]
	v_fma_f64 v[72:73], v[72:73], s[20:21], -v[76:77]
	v_fma_f64 v[74:75], v[74:75], s[20:21], -v[78:79]
	v_fma_f64 v[76:77], v[48:49], s[28:29], v[56:57]
	v_fma_f64 v[78:79], v[50:51], s[28:29], v[58:59]
	;; [unrolled: 1-line block ×6, first 2 shown]
	v_add_f64_e32 v[92:93], v[52:53], v[84:85]
	v_add_f64_e32 v[94:95], v[54:55], v[86:87]
	;; [unrolled: 1-line block ×7, first 2 shown]
	v_add_f64_e64 v[50:51], v[94:95], -v[76:77]
	v_add_f64_e32 v[52:53], v[90:91], v[64:65]
	v_add_f64_e64 v[54:55], v[66:67], -v[88:89]
	v_add_f64_e64 v[56:57], v[60:61], -v[82:83]
	v_add_f64_e32 v[58:59], v[80:81], v[62:63]
	v_add_f64_e32 v[60:61], v[82:83], v[60:61]
	v_add_f64_e64 v[62:63], v[62:63], -v[80:81]
	v_add_f64_e64 v[64:65], v[64:65], -v[90:91]
	v_add_f64_e32 v[66:67], v[88:89], v[66:67]
	v_add_f64_e64 v[72:73], v[92:93], -v[78:79]
	v_add_f64_e32 v[74:75], v[76:77], v[94:95]
	v_and_b32_e32 v76, 0xffff, v96
	s_delay_alu instid0(VALU_DEP_1) | instskip(SKIP_1) | instid1(VALU_DEP_2)
	v_mul_u32_u24_e32 v78, 0x5b, v76
	v_mad_co_u64_u32 v[76:77], null, 0x60, v246, s[4:5]
	v_add_lshl_u32 v107, v78, v97, 4
	ds_store_b128 v107, v[44:47]
	ds_store_b128 v107, v[48:51] offset:208
	ds_store_b128 v107, v[52:55] offset:416
	;; [unrolled: 1-line block ×6, first 2 shown]
	global_wb scope:SCOPE_SE
	s_wait_dscnt 0x0
	s_barrier_signal -1
	s_barrier_wait -1
	global_inv scope:SCOPE_SE
	s_clause 0x5
	global_load_b128 v[48:51], v[76:77], off offset:1248
	global_load_b128 v[44:47], v[76:77], off offset:1264
	;; [unrolled: 1-line block ×6, first 2 shown]
	ds_load_b128 v[72:75], v245 offset:1456
	ds_load_b128 v[76:79], v245 offset:2912
	;; [unrolled: 1-line block ×6, first 2 shown]
	s_wait_loadcnt_dscnt 0x505
	v_mul_f64_e32 v[96:97], v[74:75], v[50:51]
	v_mul_f64_e32 v[98:99], v[72:73], v[50:51]
	s_wait_loadcnt_dscnt 0x404
	v_mul_f64_e32 v[101:102], v[78:79], v[46:47]
	v_mul_f64_e32 v[103:104], v[76:77], v[46:47]
	;; [unrolled: 3-line block ×6, first 2 shown]
	v_fma_f64 v[72:73], v[72:73], v[48:49], -v[96:97]
	v_fma_f64 v[74:75], v[74:75], v[48:49], v[98:99]
	v_fma_f64 v[76:77], v[76:77], v[44:45], -v[101:102]
	v_fma_f64 v[78:79], v[78:79], v[44:45], v[103:104]
	;; [unrolled: 2-line block ×6, first 2 shown]
	v_add_f64_e32 v[96:97], v[72:73], v[80:81]
	v_add_f64_e32 v[98:99], v[74:75], v[82:83]
	;; [unrolled: 1-line block ×4, first 2 shown]
	v_add_f64_e64 v[76:77], v[76:77], -v[84:85]
	v_add_f64_e64 v[78:79], v[78:79], -v[86:87]
	v_add_f64_e32 v[84:85], v[88:89], v[92:93]
	v_add_f64_e32 v[86:87], v[90:91], v[94:95]
	v_add_f64_e64 v[88:89], v[92:93], -v[88:89]
	v_add_f64_e64 v[90:91], v[94:95], -v[90:91]
	;; [unrolled: 1-line block ×4, first 2 shown]
	v_add_f64_e32 v[72:73], v[101:102], v[96:97]
	v_add_f64_e32 v[74:75], v[103:104], v[98:99]
	v_add_f64_e64 v[92:93], v[96:97], -v[84:85]
	v_add_f64_e64 v[94:95], v[98:99], -v[86:87]
	v_add_f64_e64 v[105:106], v[88:89], -v[76:77]
	v_add_f64_e64 v[108:109], v[90:91], -v[78:79]
	v_add_f64_e64 v[110:111], v[76:77], -v[80:81]
	v_add_f64_e64 v[112:113], v[78:79], -v[82:83]
	v_add_f64_e32 v[76:77], v[88:89], v[76:77]
	v_add_f64_e32 v[78:79], v[90:91], v[78:79]
	v_add_f64_e64 v[88:89], v[80:81], -v[88:89]
	v_add_f64_e64 v[90:91], v[82:83], -v[90:91]
	;; [unrolled: 1-line block ×4, first 2 shown]
	v_add_f64_e32 v[114:115], v[84:85], v[72:73]
	v_add_f64_e32 v[116:117], v[86:87], v[74:75]
	v_add_f64_e64 v[84:85], v[84:85], -v[101:102]
	v_add_f64_e64 v[86:87], v[86:87], -v[103:104]
	ds_load_b128 v[72:75], v245
	v_mul_f64_e32 v[92:93], s[10:11], v[92:93]
	v_mul_f64_e32 v[94:95], s[10:11], v[94:95]
	;; [unrolled: 1-line block ×6, first 2 shown]
	v_add_f64_e32 v[76:77], v[76:77], v[80:81]
	v_add_f64_e32 v[78:79], v[78:79], v[82:83]
	s_wait_dscnt 0x0
	v_add_f64_e32 v[72:73], v[72:73], v[114:115]
	v_add_f64_e32 v[74:75], v[74:75], v[116:117]
	v_mul_f64_e32 v[101:102], s[16:17], v[84:85]
	v_mul_f64_e32 v[103:104], s[16:17], v[86:87]
	v_fma_f64 v[80:81], v[84:85], s[16:17], v[92:93]
	v_fma_f64 v[82:83], v[86:87], s[16:17], v[94:95]
	;; [unrolled: 1-line block ×4, first 2 shown]
	v_fma_f64 v[105:106], v[110:111], s[6:7], -v[105:106]
	v_fma_f64 v[108:109], v[112:113], s[6:7], -v[108:109]
	;; [unrolled: 1-line block ×6, first 2 shown]
	v_fma_f64 v[110:111], v[114:115], s[18:19], v[72:73]
	v_fma_f64 v[112:113], v[116:117], s[18:19], v[74:75]
	v_fma_f64 v[96:97], v[96:97], s[20:21], -v[101:102]
	v_fma_f64 v[98:99], v[98:99], s[20:21], -v[103:104]
	v_fma_f64 v[101:102], v[76:77], s[28:29], v[84:85]
	v_fma_f64 v[103:104], v[78:79], s[28:29], v[86:87]
	;; [unrolled: 1-line block ×6, first 2 shown]
	v_add_f64_e32 v[118:119], v[80:81], v[110:111]
	v_add_f64_e32 v[120:121], v[82:83], v[112:113]
	;; [unrolled: 1-line block ×7, first 2 shown]
	v_add_f64_e64 v[78:79], v[120:121], -v[101:102]
	v_add_f64_e32 v[80:81], v[116:117], v[92:93]
	v_add_f64_e64 v[82:83], v[94:95], -v[114:115]
	v_add_f64_e64 v[84:85], v[88:89], -v[108:109]
	v_add_f64_e32 v[86:87], v[105:106], v[90:91]
	v_add_f64_e32 v[88:89], v[108:109], v[88:89]
	v_add_f64_e64 v[90:91], v[90:91], -v[105:106]
	v_add_f64_e64 v[92:93], v[92:93], -v[116:117]
	v_add_f64_e32 v[94:95], v[114:115], v[94:95]
	v_add_f64_e64 v[96:97], v[118:119], -v[103:104]
	v_add_f64_e32 v[98:99], v[101:102], v[120:121]
	ds_store_b128 v245, v[72:75]
	ds_store_b128 v245, v[76:79] offset:1456
	ds_store_b128 v245, v[80:83] offset:2912
	;; [unrolled: 1-line block ×6, first 2 shown]
	global_wb scope:SCOPE_SE
	s_wait_dscnt 0x0
	s_barrier_signal -1
	s_barrier_wait -1
	global_inv scope:SCOPE_SE
	s_and_saveexec_b32 s6, vcc_lo
	s_cbranch_execz .LBB0_9
; %bb.8:
	s_add_nc_u64 s[4:5], s[8:9], 0x27d0
	s_clause 0xc
	global_load_b128 v[101:104], v245, s[8:9] offset:10192
	global_load_b128 v[108:111], v245, s[4:5] offset:784
	;; [unrolled: 1-line block ×13, first 2 shown]
	ds_load_b128 v[156:159], v245
	ds_load_b128 v[160:163], v245 offset:784
	ds_load_b128 v[164:167], v245 offset:1568
	;; [unrolled: 1-line block ×12, first 2 shown]
	s_wait_loadcnt_dscnt 0xc0c
	v_mul_f64_e32 v[105:106], v[158:159], v[103:104]
	v_mul_f64_e32 v[208:209], v[156:157], v[103:104]
	s_wait_loadcnt_dscnt 0xb0b
	v_mul_f64_e32 v[210:211], v[162:163], v[110:111]
	v_mul_f64_e32 v[110:111], v[160:161], v[110:111]
	;; [unrolled: 3-line block ×13, first 2 shown]
	v_fma_f64 v[103:104], v[156:157], v[101:102], -v[105:106]
	v_fma_f64 v[105:106], v[158:159], v[101:102], v[208:209]
	v_fma_f64 v[154:155], v[160:161], v[108:109], -v[210:211]
	v_fma_f64 v[156:157], v[162:163], v[108:109], v[110:111]
	;; [unrolled: 2-line block ×13, first 2 shown]
	ds_store_b128 v245, v[103:106]
	ds_store_b128 v245, v[154:157] offset:784
	ds_store_b128 v245, v[108:111] offset:1568
	;; [unrolled: 1-line block ×12, first 2 shown]
.LBB0_9:
	s_wait_alu 0xfffe
	s_or_b32 exec_lo, exec_lo, s6
	global_wb scope:SCOPE_SE
	s_wait_dscnt 0x0
	s_barrier_signal -1
	s_barrier_wait -1
	global_inv scope:SCOPE_SE
	s_and_saveexec_b32 s4, vcc_lo
	s_cbranch_execz .LBB0_11
; %bb.10:
	ds_load_b128 v[72:75], v245
	ds_load_b128 v[76:79], v245 offset:784
	ds_load_b128 v[80:83], v245 offset:1568
	;; [unrolled: 1-line block ×12, first 2 shown]
.LBB0_11:
	s_wait_alu 0xfffe
	s_or_b32 exec_lo, exec_lo, s4
	global_wb scope:SCOPE_SE
	s_wait_dscnt 0x0
	s_barrier_signal -1
	s_barrier_wait -1
	global_inv scope:SCOPE_SE
	s_and_saveexec_b32 s33, vcc_lo
	s_cbranch_execz .LBB0_13
; %bb.12:
	v_add_f64_e32 v[101:102], v[74:75], v[78:79]
	v_add_f64_e32 v[103:104], v[72:73], v[76:77]
	v_add_f64_e64 v[116:117], v[88:89], -v[20:21]
	v_add_f64_e64 v[118:119], v[90:91], -v[22:23]
	v_add_f64_e32 v[120:121], v[86:87], v[10:11]
	v_add_f64_e64 v[122:123], v[86:87], -v[10:11]
	v_add_f64_e32 v[124:125], v[84:85], v[8:9]
	v_add_f64_e64 v[126:127], v[80:81], -v[4:5]
	v_add_f64_e64 v[128:129], v[82:83], -v[6:7]
	v_add_f64_e32 v[130:131], v[82:83], v[6:7]
	v_add_f64_e32 v[132:133], v[80:81], v[4:5]
	s_mov_b32 s37, 0x3fddbe06
	s_mov_b32 s36, 0x4267c47c
	;; [unrolled: 1-line block ×14, first 2 shown]
	s_wait_alu 0xfffe
	s_mov_b32 s26, s34
	s_mov_b32 s24, s30
	;; [unrolled: 1-line block ×13, first 2 shown]
	v_add_f64_e32 v[101:102], v[101:102], v[82:83]
	v_add_f64_e32 v[103:104], v[103:104], v[80:81]
	s_mov_b32 s29, 0x3fec55a7
	s_mov_b32 s39, 0x3fe5384d
	;; [unrolled: 1-line block ×3, first 2 shown]
	s_delay_alu instid0(VALU_DEP_2) | instskip(NEXT) | instid1(VALU_DEP_2)
	v_add_f64_e32 v[101:102], v[101:102], v[86:87]
	v_add_f64_e32 v[103:104], v[103:104], v[84:85]
	s_delay_alu instid0(VALU_DEP_2) | instskip(NEXT) | instid1(VALU_DEP_2)
	v_add_f64_e32 v[101:102], v[101:102], v[90:91]
	v_add_f64_e32 v[103:104], v[103:104], v[88:89]
	;; [unrolled: 3-line block ×4, first 2 shown]
	v_add_f64_e32 v[101:102], v[98:99], v[70:71]
	v_add_f64_e64 v[98:99], v[98:99], -v[70:71]
	v_add_f64_e64 v[103:104], v[96:97], -v[68:69]
	v_add_f64_e32 v[96:97], v[96:97], v[68:69]
	v_add_f64_e32 v[110:111], v[105:106], v[70:71]
	;; [unrolled: 1-line block ×3, first 2 shown]
	v_add_f64_e64 v[105:106], v[92:93], -v[40:41]
	v_add_f64_e32 v[70:71], v[92:93], v[40:41]
	v_add_f64_e32 v[68:69], v[94:95], v[42:43]
	v_add_f64_e64 v[94:95], v[94:95], -v[42:43]
	v_mul_f64_e32 v[112:113], s[36:37], v[103:104]
	v_mul_f64_e32 v[114:115], s[36:37], v[98:99]
	;; [unrolled: 1-line block ×6, first 2 shown]
	v_add_f64_e32 v[92:93], v[110:111], v[42:43]
	v_add_f64_e32 v[108:109], v[108:109], v[40:41]
	;; [unrolled: 1-line block ×4, first 2 shown]
	v_mul_f64_e32 v[80:81], s[36:37], v[105:106]
	v_mul_f64_e32 v[82:83], s[36:37], v[94:95]
	;; [unrolled: 1-line block ×4, first 2 shown]
	v_add_f64_e32 v[22:23], v[92:93], v[22:23]
	v_add_f64_e32 v[20:21], v[108:109], v[20:21]
	v_add_f64_e64 v[92:93], v[84:85], -v[8:9]
	v_mul_f64_e32 v[108:109], s[36:37], v[116:117]
	s_delay_alu instid0(VALU_DEP_4) | instskip(NEXT) | instid1(VALU_DEP_4)
	v_add_f64_e32 v[10:11], v[22:23], v[10:11]
	v_add_f64_e32 v[8:9], v[20:21], v[8:9]
	;; [unrolled: 1-line block ×4, first 2 shown]
	v_mul_f64_e32 v[88:89], s[36:37], v[92:93]
	v_add_f64_e32 v[6:7], v[10:11], v[6:7]
	v_add_f64_e32 v[4:5], v[8:9], v[4:5]
	v_add_f64_e64 v[8:9], v[76:77], -v[0:1]
	v_add_f64_e64 v[10:11], v[78:79], -v[2:3]
	v_mul_f64_e32 v[76:77], s[36:37], v[126:127]
	v_mul_f64_e32 v[78:79], s[36:37], v[128:129]
	s_mov_b32 s37, 0xbfddbe06
	v_add_f64_e32 v[2:3], v[6:7], v[2:3]
	v_add_f64_e32 v[0:1], v[4:5], v[0:1]
	v_mul_f64_e32 v[4:5], s[4:5], v[8:9]
	v_mul_f64_e32 v[6:7], s[6:7], v[8:9]
	;; [unrolled: 1-line block ×3, first 2 shown]
	s_wait_alu 0xfffe
	v_mul_f64_e32 v[86:87], s[24:25], v[8:9]
	v_mul_f64_e32 v[134:135], s[26:27], v[8:9]
	;; [unrolled: 1-line block ×7, first 2 shown]
	v_fma_f64 v[136:137], v[20:21], s[14:15], v[4:5]
	v_fma_f64 v[4:5], v[20:21], s[14:15], -v[4:5]
	v_fma_f64 v[138:139], v[20:21], s[16:17], v[6:7]
	v_fma_f64 v[6:7], v[20:21], s[16:17], -v[6:7]
	;; [unrolled: 2-line block ×6, first 2 shown]
	v_mul_f64_e32 v[20:21], s[4:5], v[10:11]
	v_mul_f64_e32 v[10:11], s[36:37], v[10:11]
	v_fma_f64 v[162:163], v[22:23], s[20:21], -v[152:153]
	v_fma_f64 v[152:153], v[22:23], s[20:21], v[152:153]
	v_fma_f64 v[164:165], v[22:23], s[22:23], -v[154:155]
	v_fma_f64 v[158:159], v[22:23], s[16:17], -v[148:149]
	v_fma_f64 v[148:149], v[22:23], s[16:17], v[148:149]
	v_fma_f64 v[160:161], v[22:23], s[18:19], -v[150:151]
	v_fma_f64 v[150:151], v[22:23], s[18:19], v[150:151]
	v_fma_f64 v[154:155], v[22:23], s[22:23], v[154:155]
	s_mov_b32 s37, 0x3fcea1e5
	s_mov_b32 s36, s4
	v_add_f64_e32 v[138:139], v[74:75], v[138:139]
	v_add_f64_e32 v[168:169], v[74:75], v[6:7]
	v_fma_f64 v[6:7], v[132:133], s[28:29], -v[78:79]
	v_add_f64_e32 v[170:171], v[74:75], v[84:85]
	v_fma_f64 v[78:79], v[132:133], s[28:29], v[78:79]
	v_add_f64_e32 v[84:85], v[74:75], v[86:87]
	v_add_f64_e32 v[140:141], v[74:75], v[140:141]
	;; [unrolled: 1-line block ×5, first 2 shown]
	v_fma_f64 v[156:157], v[22:23], s[14:15], -v[20:21]
	v_fma_f64 v[166:167], v[22:23], s[28:29], -v[10:11]
	v_fma_f64 v[20:21], v[22:23], s[14:15], v[20:21]
	v_fma_f64 v[10:11], v[22:23], s[28:29], v[10:11]
	v_add_f64_e32 v[22:23], v[74:75], v[136:137]
	v_add_f64_e32 v[86:87], v[72:73], v[152:153]
	;; [unrolled: 1-line block ×14, first 2 shown]
	v_fma_f64 v[4:5], v[130:131], s[28:29], v[76:77]
	v_mul_f64_e32 v[8:9], s[6:7], v[92:93]
	v_add_f64_e32 v[172:173], v[72:73], v[10:11]
	v_add_f64_e32 v[20:21], v[72:73], v[20:21]
	v_fma_f64 v[76:77], v[130:131], s[28:29], -v[76:77]
	v_add_f64_e32 v[6:7], v[6:7], v[136:137]
	v_add_f64_e32 v[4:5], v[4:5], v[22:23]
	v_fma_f64 v[10:11], v[120:121], s[16:17], v[8:9]
	v_fma_f64 v[8:9], v[120:121], s[16:17], -v[8:9]
	v_add_f64_e32 v[20:21], v[78:79], v[20:21]
	v_add_f64_e32 v[76:77], v[76:77], v[156:157]
	s_delay_alu instid0(VALU_DEP_4) | instskip(SKIP_1) | instid1(VALU_DEP_3)
	v_add_f64_e32 v[4:5], v[10:11], v[4:5]
	v_mul_f64_e32 v[10:11], s[6:7], v[122:123]
	v_add_f64_e32 v[8:9], v[8:9], v[76:77]
	v_mul_f64_e32 v[76:77], s[26:27], v[92:93]
	s_delay_alu instid0(VALU_DEP_3) | instskip(SKIP_1) | instid1(VALU_DEP_3)
	v_fma_f64 v[22:23], v[124:125], s[16:17], -v[10:11]
	v_fma_f64 v[10:11], v[124:125], s[16:17], v[10:11]
	v_fma_f64 v[78:79], v[120:121], s[22:23], v[76:77]
	v_fma_f64 v[76:77], v[120:121], s[22:23], -v[76:77]
	s_delay_alu instid0(VALU_DEP_4) | instskip(SKIP_2) | instid1(VALU_DEP_2)
	v_add_f64_e32 v[6:7], v[22:23], v[6:7]
	v_mul_f64_e32 v[22:23], s[34:35], v[116:117]
	v_add_f64_e32 v[10:11], v[10:11], v[20:21]
	v_fma_f64 v[72:73], v[40:41], s[22:23], v[22:23]
	v_fma_f64 v[20:21], v[40:41], s[22:23], -v[22:23]
	v_fma_f64 v[22:23], v[96:97], s[20:21], v[178:179]
	s_delay_alu instid0(VALU_DEP_3) | instskip(SKIP_1) | instid1(VALU_DEP_4)
	v_add_f64_e32 v[4:5], v[72:73], v[4:5]
	v_mul_f64_e32 v[72:73], s[34:35], v[118:119]
	v_add_f64_e32 v[8:9], v[20:21], v[8:9]
	s_delay_alu instid0(VALU_DEP_2) | instskip(SKIP_2) | instid1(VALU_DEP_3)
	v_fma_f64 v[74:75], v[42:43], s[22:23], -v[72:73]
	v_fma_f64 v[20:21], v[42:43], s[22:23], v[72:73]
	v_mul_f64_e32 v[72:73], s[30:31], v[126:127]
	v_add_f64_e32 v[6:7], v[74:75], v[6:7]
	v_mul_f64_e32 v[74:75], s[10:11], v[105:106]
	s_delay_alu instid0(VALU_DEP_4) | instskip(NEXT) | instid1(VALU_DEP_2)
	v_add_f64_e32 v[10:11], v[20:21], v[10:11]
	v_fma_f64 v[136:137], v[68:69], s[18:19], v[74:75]
	v_fma_f64 v[20:21], v[68:69], s[18:19], -v[74:75]
	v_mul_f64_e32 v[74:75], s[30:31], v[128:129]
	s_delay_alu instid0(VALU_DEP_3) | instskip(SKIP_1) | instid1(VALU_DEP_4)
	v_add_f64_e32 v[4:5], v[136:137], v[4:5]
	v_mul_f64_e32 v[136:137], s[10:11], v[94:95]
	v_add_f64_e32 v[8:9], v[20:21], v[8:9]
	s_delay_alu instid0(VALU_DEP_2) | instskip(SKIP_1) | instid1(VALU_DEP_2)
	v_fma_f64 v[20:21], v[70:71], s[18:19], v[136:137]
	v_fma_f64 v[174:175], v[70:71], s[18:19], -v[136:137]
	v_add_f64_e32 v[20:21], v[20:21], v[10:11]
	v_fma_f64 v[10:11], v[101:102], s[20:21], -v[176:177]
	s_delay_alu instid0(VALU_DEP_3) | instskip(SKIP_1) | instid1(VALU_DEP_3)
	v_add_f64_e32 v[174:175], v[174:175], v[6:7]
	v_fma_f64 v[6:7], v[101:102], s[20:21], v[176:177]
	v_add_f64_e32 v[10:11], v[10:11], v[8:9]
	v_add_f64_e32 v[8:9], v[22:23], v[20:21]
	v_fma_f64 v[20:21], v[130:131], s[20:21], v[72:73]
	v_fma_f64 v[22:23], v[132:133], s[20:21], -v[74:75]
	v_fma_f64 v[72:73], v[130:131], s[20:21], -v[72:73]
	v_fma_f64 v[74:75], v[132:133], s[20:21], v[74:75]
	v_add_f64_e32 v[6:7], v[6:7], v[4:5]
	v_fma_f64 v[4:5], v[96:97], s[20:21], -v[178:179]
	v_add_f64_e32 v[20:21], v[20:21], v[138:139]
	v_add_f64_e32 v[22:23], v[22:23], v[158:159]
	;; [unrolled: 1-line block ×4, first 2 shown]
	v_mul_f64_e32 v[158:159], s[10:11], v[103:104]
	v_add_f64_e32 v[4:5], v[4:5], v[174:175]
	v_mul_f64_e32 v[174:175], s[10:11], v[98:99]
	v_mul_f64_e32 v[148:149], s[24:25], v[118:119]
	;; [unrolled: 1-line block ×4, first 2 shown]
	v_add_f64_e32 v[20:21], v[78:79], v[20:21]
	v_mul_f64_e32 v[78:79], s[26:27], v[122:123]
	v_add_f64_e32 v[72:73], v[76:77], v[72:73]
	s_delay_alu instid0(VALU_DEP_2) | instskip(SKIP_2) | instid1(VALU_DEP_3)
	v_fma_f64 v[136:137], v[124:125], s[22:23], -v[78:79]
	v_fma_f64 v[76:77], v[124:125], s[22:23], v[78:79]
	v_fma_f64 v[78:79], v[96:97], s[18:19], v[174:175]
	v_add_f64_e32 v[22:23], v[136:137], v[22:23]
	s_wait_alu 0xfffe
	v_mul_f64_e32 v[136:137], s[36:37], v[116:117]
	s_delay_alu instid0(VALU_DEP_4) | instskip(NEXT) | instid1(VALU_DEP_2)
	v_add_f64_e32 v[74:75], v[76:77], v[74:75]
	v_fma_f64 v[138:139], v[40:41], s[14:15], v[136:137]
	v_fma_f64 v[76:77], v[40:41], s[14:15], -v[136:137]
	v_mul_f64_e32 v[136:137], s[38:39], v[126:127]
	s_delay_alu instid0(VALU_DEP_3) | instskip(SKIP_1) | instid1(VALU_DEP_4)
	v_add_f64_e32 v[20:21], v[138:139], v[20:21]
	v_mul_f64_e32 v[138:139], s[36:37], v[118:119]
	v_add_f64_e32 v[72:73], v[76:77], v[72:73]
	s_delay_alu instid0(VALU_DEP_2) | instskip(SKIP_2) | instid1(VALU_DEP_3)
	v_fma_f64 v[76:77], v[42:43], s[14:15], v[138:139]
	v_fma_f64 v[156:157], v[42:43], s[14:15], -v[138:139]
	v_mul_f64_e32 v[138:139], s[38:39], v[128:129]
	v_add_f64_e32 v[74:75], v[76:77], v[74:75]
	v_fma_f64 v[76:77], v[68:69], s[28:29], -v[80:81]
	s_delay_alu instid0(VALU_DEP_4)
	v_add_f64_e32 v[22:23], v[156:157], v[22:23]
	v_fma_f64 v[156:157], v[68:69], s[28:29], v[80:81]
	v_fma_f64 v[80:81], v[120:121], s[28:29], v[88:89]
	v_fma_f64 v[88:89], v[120:121], s[28:29], -v[88:89]
	v_add_f64_e32 v[72:73], v[76:77], v[72:73]
	v_fma_f64 v[76:77], v[70:71], s[28:29], v[82:83]
	v_add_f64_e32 v[20:21], v[156:157], v[20:21]
	v_fma_f64 v[156:157], v[70:71], s[28:29], -v[82:83]
	s_delay_alu instid0(VALU_DEP_3) | instskip(SKIP_1) | instid1(VALU_DEP_3)
	v_add_f64_e32 v[76:77], v[76:77], v[74:75]
	v_fma_f64 v[74:75], v[101:102], s[18:19], -v[158:159]
	v_add_f64_e32 v[156:157], v[156:157], v[22:23]
	v_fma_f64 v[22:23], v[101:102], s[18:19], v[158:159]
	v_mul_f64_e32 v[158:159], s[36:37], v[94:95]
	s_delay_alu instid0(VALU_DEP_4)
	v_add_f64_e32 v[74:75], v[74:75], v[72:73]
	v_add_f64_e32 v[72:73], v[78:79], v[76:77]
	v_fma_f64 v[76:77], v[130:131], s[16:17], v[136:137]
	v_fma_f64 v[78:79], v[132:133], s[16:17], -v[138:139]
	v_add_f64_e32 v[22:23], v[22:23], v[20:21]
	v_fma_f64 v[20:21], v[96:97], s[18:19], -v[174:175]
	v_mul_f64_e32 v[174:175], s[10:11], v[126:127]
	v_fma_f64 v[136:137], v[130:131], s[16:17], -v[136:137]
	v_fma_f64 v[138:139], v[132:133], s[16:17], v[138:139]
	v_add_f64_e32 v[76:77], v[76:77], v[140:141]
	v_add_f64_e32 v[78:79], v[78:79], v[160:161]
	v_mul_f64_e32 v[140:141], s[24:25], v[116:117]
	v_add_f64_e32 v[20:21], v[20:21], v[156:157]
	v_mul_f64_e32 v[156:157], s[36:37], v[105:106]
	v_mul_f64_e32 v[160:161], s[34:35], v[103:104]
	v_add_f64_e32 v[136:137], v[136:137], v[170:171]
	v_add_f64_e32 v[138:139], v[138:139], v[150:151]
	v_mul_f64_e32 v[103:104], s[4:5], v[103:104]
	v_add_f64_e32 v[76:77], v[80:81], v[76:77]
	v_fma_f64 v[80:81], v[124:125], s[28:29], -v[90:91]
	v_fma_f64 v[90:91], v[124:125], s[28:29], v[90:91]
	v_add_f64_e32 v[88:89], v[88:89], v[136:137]
	v_fma_f64 v[136:137], v[40:41], s[20:21], -v[140:141]
	s_delay_alu instid0(VALU_DEP_4)
	v_add_f64_e32 v[78:79], v[80:81], v[78:79]
	v_fma_f64 v[80:81], v[40:41], s[20:21], v[140:141]
	v_add_f64_e32 v[90:91], v[90:91], v[138:139]
	v_fma_f64 v[138:139], v[96:97], s[22:23], v[168:169]
	;; [unrolled: 2-line block ×3, first 2 shown]
	v_add_f64_e32 v[76:77], v[80:81], v[76:77]
	v_fma_f64 v[80:81], v[42:43], s[20:21], -v[148:149]
	s_delay_alu instid0(VALU_DEP_3) | instskip(SKIP_1) | instid1(VALU_DEP_3)
	v_add_f64_e32 v[90:91], v[136:137], v[90:91]
	v_fma_f64 v[136:137], v[68:69], s[14:15], -v[156:157]
	v_add_f64_e32 v[78:79], v[80:81], v[78:79]
	v_fma_f64 v[80:81], v[68:69], s[14:15], v[156:157]
	s_delay_alu instid0(VALU_DEP_3) | instskip(SKIP_1) | instid1(VALU_DEP_3)
	v_add_f64_e32 v[88:89], v[136:137], v[88:89]
	v_fma_f64 v[136:137], v[70:71], s[14:15], v[158:159]
	v_add_f64_e32 v[76:77], v[80:81], v[76:77]
	v_fma_f64 v[80:81], v[70:71], s[14:15], -v[158:159]
	s_delay_alu instid0(VALU_DEP_3) | instskip(SKIP_1) | instid1(VALU_DEP_3)
	v_add_f64_e32 v[136:137], v[136:137], v[90:91]
	v_fma_f64 v[90:91], v[101:102], s[22:23], -v[160:161]
	v_add_f64_e32 v[80:81], v[80:81], v[78:79]
	v_fma_f64 v[78:79], v[101:102], s[22:23], v[160:161]
	s_delay_alu instid0(VALU_DEP_3) | instskip(SKIP_1) | instid1(VALU_DEP_3)
	v_add_f64_e32 v[90:91], v[90:91], v[88:89]
	v_add_f64_e32 v[88:89], v[138:139], v[136:137]
	;; [unrolled: 1-line block ×3, first 2 shown]
	v_fma_f64 v[76:77], v[96:97], s[22:23], -v[168:169]
	s_delay_alu instid0(VALU_DEP_1) | instskip(SKIP_1) | instid1(VALU_DEP_1)
	v_add_f64_e32 v[76:77], v[76:77], v[80:81]
	v_fma_f64 v[80:81], v[130:131], s[18:19], -v[174:175]
	v_add_f64_e32 v[80:81], v[80:81], v[134:135]
	v_mul_f64_e32 v[134:135], s[10:11], v[128:129]
	s_delay_alu instid0(VALU_DEP_1) | instskip(SKIP_1) | instid1(VALU_DEP_2)
	v_fma_f64 v[82:83], v[132:133], s[18:19], v[134:135]
	v_fma_f64 v[134:135], v[132:133], s[18:19], -v[134:135]
	v_add_f64_e32 v[82:83], v[82:83], v[154:155]
	v_mul_f64_e32 v[154:155], s[4:5], v[92:93]
	s_delay_alu instid0(VALU_DEP_3) | instskip(NEXT) | instid1(VALU_DEP_2)
	v_add_f64_e32 v[134:135], v[134:135], v[152:153]
	v_fma_f64 v[176:177], v[120:121], s[14:15], -v[154:155]
	s_delay_alu instid0(VALU_DEP_1) | instskip(SKIP_1) | instid1(VALU_DEP_1)
	v_add_f64_e32 v[80:81], v[176:177], v[80:81]
	v_mul_f64_e32 v[176:177], s[4:5], v[122:123]
	v_fma_f64 v[178:179], v[124:125], s[14:15], v[176:177]
	s_delay_alu instid0(VALU_DEP_1) | instskip(SKIP_2) | instid1(VALU_DEP_2)
	v_add_f64_e32 v[82:83], v[178:179], v[82:83]
	v_mul_f64_e32 v[178:179], s[38:39], v[116:117]
	v_mul_f64_e32 v[116:117], s[10:11], v[116:117]
	v_fma_f64 v[180:181], v[40:41], s[16:17], -v[178:179]
	s_delay_alu instid0(VALU_DEP_1) | instskip(SKIP_2) | instid1(VALU_DEP_2)
	v_add_f64_e32 v[80:81], v[180:181], v[80:81]
	v_mul_f64_e32 v[180:181], s[38:39], v[118:119]
	v_mul_f64_e32 v[118:119], s[10:11], v[118:119]
	v_fma_f64 v[182:183], v[42:43], s[16:17], v[180:181]
	s_delay_alu instid0(VALU_DEP_1) | instskip(SKIP_1) | instid1(VALU_DEP_1)
	v_add_f64_e32 v[82:83], v[182:183], v[82:83]
	v_mul_f64_e32 v[182:183], s[30:31], v[105:106]
	v_fma_f64 v[184:185], v[68:69], s[20:21], -v[182:183]
	s_delay_alu instid0(VALU_DEP_1) | instskip(SKIP_3) | instid1(VALU_DEP_1)
	v_add_f64_e32 v[80:81], v[184:185], v[80:81]
	v_mul_f64_e32 v[184:185], s[30:31], v[94:95]
	s_mov_b32 s31, 0x3fedeba7
	s_mov_b32 s30, s10
	v_fma_f64 v[186:187], v[70:71], s[20:21], v[184:185]
	s_delay_alu instid0(VALU_DEP_1) | instskip(SKIP_2) | instid1(VALU_DEP_2)
	v_add_f64_e32 v[186:187], v[186:187], v[82:83]
	v_fma_f64 v[82:83], v[101:102], s[28:29], -v[112:113]
	v_fma_f64 v[112:113], v[101:102], s[28:29], v[112:113]
	v_add_f64_e32 v[82:83], v[82:83], v[80:81]
	v_fma_f64 v[80:81], v[96:97], s[28:29], v[114:115]
	s_delay_alu instid0(VALU_DEP_1) | instskip(SKIP_2) | instid1(VALU_DEP_2)
	v_add_f64_e32 v[80:81], v[80:81], v[186:187]
	v_mul_f64_e32 v[186:187], s[4:5], v[126:127]
	v_mul_f64_e32 v[126:127], s[26:27], v[126:127]
	v_fma_f64 v[188:189], v[130:131], s[14:15], -v[186:187]
	v_fma_f64 v[136:137], v[130:131], s[14:15], v[186:187]
	s_delay_alu instid0(VALU_DEP_2) | instskip(SKIP_1) | instid1(VALU_DEP_3)
	v_add_f64_e32 v[84:85], v[188:189], v[84:85]
	v_mul_f64_e32 v[188:189], s[4:5], v[128:129]
	v_add_f64_e32 v[136:137], v[136:137], v[142:143]
	v_mul_f64_e32 v[128:129], s[26:27], v[128:129]
	s_delay_alu instid0(VALU_DEP_3) | instskip(SKIP_1) | instid1(VALU_DEP_2)
	v_fma_f64 v[190:191], v[132:133], s[14:15], v[188:189]
	v_fma_f64 v[138:139], v[132:133], s[14:15], -v[188:189]
	v_add_f64_e32 v[86:87], v[190:191], v[86:87]
	s_wait_alu 0xfffe
	v_mul_f64_e32 v[190:191], s[30:31], v[92:93]
	s_delay_alu instid0(VALU_DEP_3) | instskip(NEXT) | instid1(VALU_DEP_2)
	v_add_f64_e32 v[138:139], v[138:139], v[162:163]
	v_fma_f64 v[192:193], v[120:121], s[18:19], -v[190:191]
	v_fma_f64 v[140:141], v[120:121], s[18:19], v[190:191]
	s_delay_alu instid0(VALU_DEP_2) | instskip(SKIP_1) | instid1(VALU_DEP_3)
	v_add_f64_e32 v[84:85], v[192:193], v[84:85]
	v_mul_f64_e32 v[192:193], s[30:31], v[122:123]
	v_add_f64_e32 v[136:137], v[140:141], v[136:137]
	v_mul_f64_e32 v[122:123], s[24:25], v[122:123]
	s_delay_alu instid0(VALU_DEP_3) | instskip(SKIP_1) | instid1(VALU_DEP_2)
	v_fma_f64 v[194:195], v[124:125], s[18:19], v[192:193]
	v_fma_f64 v[140:141], v[124:125], s[18:19], -v[192:193]
	v_add_f64_e32 v[86:87], v[194:195], v[86:87]
	v_fma_f64 v[194:195], v[40:41], s[28:29], -v[108:109]
	v_fma_f64 v[108:109], v[40:41], s[28:29], v[108:109]
	s_delay_alu instid0(VALU_DEP_4) | instskip(NEXT) | instid1(VALU_DEP_3)
	v_add_f64_e32 v[138:139], v[140:141], v[138:139]
	v_add_f64_e32 v[84:85], v[194:195], v[84:85]
	v_fma_f64 v[194:195], v[42:43], s[28:29], v[110:111]
	s_delay_alu instid0(VALU_DEP_4) | instskip(SKIP_1) | instid1(VALU_DEP_3)
	v_add_f64_e32 v[108:109], v[108:109], v[136:137]
	v_fma_f64 v[110:111], v[42:43], s[28:29], -v[110:111]
	v_add_f64_e32 v[86:87], v[194:195], v[86:87]
	v_mul_f64_e32 v[194:195], s[26:27], v[105:106]
	s_delay_alu instid0(VALU_DEP_3) | instskip(SKIP_2) | instid1(VALU_DEP_4)
	v_add_f64_e32 v[110:111], v[110:111], v[138:139]
	v_fma_f64 v[138:139], v[96:97], s[16:17], -v[202:203]
	v_mul_f64_e32 v[105:106], s[6:7], v[105:106]
	v_fma_f64 v[196:197], v[68:69], s[22:23], -v[194:195]
	v_fma_f64 v[136:137], v[68:69], s[22:23], v[194:195]
	s_delay_alu instid0(VALU_DEP_2) | instskip(SKIP_1) | instid1(VALU_DEP_3)
	v_add_f64_e32 v[84:85], v[196:197], v[84:85]
	v_mul_f64_e32 v[196:197], s[26:27], v[94:95]
	v_add_f64_e32 v[108:109], v[136:137], v[108:109]
	s_delay_alu instid0(VALU_DEP_2) | instskip(SKIP_1) | instid1(VALU_DEP_2)
	v_fma_f64 v[136:137], v[70:71], s[22:23], -v[196:197]
	v_fma_f64 v[198:199], v[70:71], s[22:23], v[196:197]
	v_add_f64_e32 v[136:137], v[136:137], v[110:111]
	v_fma_f64 v[110:111], v[101:102], s[16:17], v[200:201]
	s_delay_alu instid0(VALU_DEP_3) | instskip(SKIP_1) | instid1(VALU_DEP_3)
	v_add_f64_e32 v[198:199], v[198:199], v[86:87]
	v_fma_f64 v[86:87], v[101:102], s[16:17], -v[200:201]
	v_add_f64_e32 v[110:111], v[110:111], v[108:109]
	v_add_f64_e32 v[108:109], v[138:139], v[136:137]
	v_fma_f64 v[136:137], v[130:131], s[18:19], v[174:175]
	v_fma_f64 v[138:139], v[120:121], s[14:15], v[154:155]
	v_add_f64_e32 v[86:87], v[86:87], v[84:85]
	v_fma_f64 v[84:85], v[96:97], s[16:17], v[202:203]
	s_delay_alu instid0(VALU_DEP_4) | instskip(NEXT) | instid1(VALU_DEP_2)
	v_add_f64_e32 v[136:137], v[136:137], v[144:145]
	v_add_f64_e32 v[84:85], v[84:85], v[198:199]
	s_delay_alu instid0(VALU_DEP_2) | instskip(SKIP_1) | instid1(VALU_DEP_1)
	v_add_f64_e32 v[136:137], v[138:139], v[136:137]
	v_fma_f64 v[138:139], v[124:125], s[14:15], -v[176:177]
	v_add_f64_e32 v[134:135], v[138:139], v[134:135]
	v_fma_f64 v[138:139], v[40:41], s[16:17], v[178:179]
	s_delay_alu instid0(VALU_DEP_1) | instskip(SKIP_1) | instid1(VALU_DEP_1)
	v_add_f64_e32 v[136:137], v[138:139], v[136:137]
	v_fma_f64 v[138:139], v[42:43], s[16:17], -v[180:181]
	v_add_f64_e32 v[134:135], v[138:139], v[134:135]
	v_fma_f64 v[138:139], v[68:69], s[20:21], v[182:183]
	s_delay_alu instid0(VALU_DEP_1) | instskip(SKIP_1) | instid1(VALU_DEP_1)
	v_add_f64_e32 v[136:137], v[138:139], v[136:137]
	v_fma_f64 v[138:139], v[70:71], s[20:21], -v[184:185]
	v_add_f64_e32 v[134:135], v[138:139], v[134:135]
	v_fma_f64 v[138:139], v[96:97], s[28:29], -v[114:115]
	s_delay_alu instid0(VALU_DEP_4) | instskip(SKIP_2) | instid1(VALU_DEP_4)
	v_add_f64_e32 v[114:115], v[112:113], v[136:137]
	v_fma_f64 v[136:137], v[132:133], s[22:23], v[128:129]
	v_fma_f64 v[128:129], v[132:133], s[22:23], -v[128:129]
	v_add_f64_e32 v[112:113], v[138:139], v[134:135]
	v_fma_f64 v[134:135], v[130:131], s[22:23], -v[126:127]
	v_mul_f64_e32 v[138:139], s[24:25], v[92:93]
	v_add_f64_e32 v[136:137], v[136:137], v[172:173]
	v_fma_f64 v[126:127], v[130:131], s[22:23], v[126:127]
	s_delay_alu instid0(VALU_DEP_4) | instskip(NEXT) | instid1(VALU_DEP_4)
	v_add_f64_e32 v[134:135], v[134:135], v[166:167]
	v_fma_f64 v[92:93], v[120:121], s[20:21], -v[138:139]
	v_fma_f64 v[120:121], v[120:121], s[20:21], v[138:139]
	s_delay_alu instid0(VALU_DEP_4) | instskip(NEXT) | instid1(VALU_DEP_3)
	v_add_f64_e32 v[126:127], v[126:127], v[146:147]
	v_add_f64_e32 v[92:93], v[92:93], v[134:135]
	v_fma_f64 v[134:135], v[124:125], s[20:21], v[122:123]
	v_fma_f64 v[122:123], v[124:125], s[20:21], -v[122:123]
	v_add_f64_e32 v[124:125], v[128:129], v[164:165]
	s_delay_alu instid0(VALU_DEP_3) | instskip(SKIP_3) | instid1(VALU_DEP_3)
	v_add_f64_e32 v[134:135], v[134:135], v[136:137]
	v_fma_f64 v[136:137], v[40:41], s[18:19], -v[116:117]
	v_fma_f64 v[40:41], v[40:41], s[18:19], v[116:117]
	v_add_f64_e32 v[116:117], v[120:121], v[126:127]
	v_add_f64_e32 v[92:93], v[136:137], v[92:93]
	v_fma_f64 v[136:137], v[42:43], s[18:19], v[118:119]
	v_fma_f64 v[42:43], v[42:43], s[18:19], -v[118:119]
	v_add_f64_e32 v[118:119], v[122:123], v[124:125]
	v_add_f64_e32 v[40:41], v[40:41], v[116:117]
	s_delay_alu instid0(VALU_DEP_4) | instskip(SKIP_3) | instid1(VALU_DEP_3)
	v_add_f64_e32 v[134:135], v[136:137], v[134:135]
	v_fma_f64 v[136:137], v[68:69], s[16:17], -v[105:106]
	v_fma_f64 v[68:69], v[68:69], s[16:17], v[105:106]
	v_add_f64_e32 v[42:43], v[42:43], v[118:119]
	v_add_f64_e32 v[92:93], v[136:137], v[92:93]
	v_mul_f64_e32 v[136:137], s[6:7], v[94:95]
	s_delay_alu instid0(VALU_DEP_4) | instskip(SKIP_1) | instid1(VALU_DEP_3)
	v_add_f64_e32 v[40:41], v[68:69], v[40:41]
	v_fma_f64 v[68:69], v[96:97], s[14:15], -v[98:99]
	v_fma_f64 v[94:95], v[70:71], s[16:17], v[136:137]
	v_fma_f64 v[70:71], v[70:71], s[16:17], -v[136:137]
	s_delay_alu instid0(VALU_DEP_2) | instskip(SKIP_2) | instid1(VALU_DEP_4)
	v_add_f64_e32 v[134:135], v[94:95], v[134:135]
	v_fma_f64 v[94:95], v[101:102], s[14:15], -v[103:104]
	v_fma_f64 v[101:102], v[101:102], s[14:15], v[103:104]
	v_add_f64_e32 v[70:71], v[70:71], v[42:43]
	s_delay_alu instid0(VALU_DEP_3) | instskip(SKIP_1) | instid1(VALU_DEP_4)
	v_add_f64_e32 v[94:95], v[94:95], v[92:93]
	v_fma_f64 v[92:93], v[96:97], s[14:15], v[98:99]
	v_add_f64_e32 v[42:43], v[101:102], v[40:41]
	s_delay_alu instid0(VALU_DEP_4) | instskip(SKIP_1) | instid1(VALU_DEP_1)
	v_add_f64_e32 v[40:41], v[68:69], v[70:71]
	v_and_b32_e32 v68, 0xffff, v247
	v_lshlrev_b32_e32 v68, 4, v68
	v_add_f64_e32 v[92:93], v[92:93], v[134:135]
	ds_store_b128 v68, v[80:83] offset:32
	ds_store_b128 v68, v[84:87] offset:48
	;; [unrolled: 1-line block ×11, first 2 shown]
	ds_store_b128 v68, v[0:3]
	ds_store_b128 v68, v[40:43] offset:192
.LBB0_13:
	s_or_b32 exec_lo, exec_lo, s33
	global_wb scope:SCOPE_SE
	s_wait_dscnt 0x0
	s_barrier_signal -1
	s_barrier_wait -1
	global_inv scope:SCOPE_SE
	ds_load_b128 v[0:3], v245 offset:1456
	ds_load_b128 v[4:7], v245 offset:2912
	;; [unrolled: 1-line block ×6, first 2 shown]
	s_mov_b32 s6, 0x37e14327
	s_mov_b32 s10, 0xe976ee23
	;; [unrolled: 1-line block ×14, first 2 shown]
	s_wait_dscnt 0x5
	v_mul_f64_e32 v[72:73], v[18:19], v[2:3]
	v_mul_f64_e32 v[18:19], v[18:19], v[0:1]
	s_wait_dscnt 0x4
	v_mul_f64_e32 v[74:75], v[14:15], v[6:7]
	v_mul_f64_e32 v[14:15], v[14:15], v[4:5]
	s_wait_dscnt 0x3
	v_mul_f64_e32 v[76:77], v[26:27], v[10:11]
	v_mul_f64_e32 v[26:27], v[26:27], v[8:9]
	s_wait_dscnt 0x2
	v_mul_f64_e32 v[78:79], v[38:39], v[22:23]
	v_mul_f64_e32 v[38:39], v[38:39], v[20:21]
	s_wait_dscnt 0x1
	v_mul_f64_e32 v[80:81], v[34:35], v[42:43]
	v_mul_f64_e32 v[34:35], v[34:35], v[40:41]
	s_wait_dscnt 0x0
	v_mul_f64_e32 v[82:83], v[30:31], v[70:71]
	v_mul_f64_e32 v[30:31], v[30:31], v[68:69]
	s_mov_b32 s21, 0xbfe77f67
	s_mov_b32 s25, 0x3fd5d0dc
	s_wait_alu 0xfffe
	s_mov_b32 s20, s18
	s_mov_b32 s24, s22
	;; [unrolled: 1-line block ×4, first 2 shown]
	v_fma_f64 v[0:1], v[16:17], v[0:1], v[72:73]
	v_fma_f64 v[2:3], v[16:17], v[2:3], -v[18:19]
	v_fma_f64 v[4:5], v[12:13], v[4:5], v[74:75]
	v_fma_f64 v[6:7], v[12:13], v[6:7], -v[14:15]
	;; [unrolled: 2-line block ×6, first 2 shown]
	v_add_f64_e32 v[24:25], v[0:1], v[8:9]
	v_add_f64_e32 v[26:27], v[2:3], v[10:11]
	;; [unrolled: 1-line block ×4, first 2 shown]
	v_add_f64_e64 v[4:5], v[4:5], -v[12:13]
	v_add_f64_e64 v[6:7], v[6:7], -v[14:15]
	v_add_f64_e32 v[12:13], v[16:17], v[20:21]
	v_add_f64_e32 v[14:15], v[18:19], v[22:23]
	v_add_f64_e64 v[16:17], v[20:21], -v[16:17]
	v_add_f64_e64 v[18:19], v[22:23], -v[18:19]
	;; [unrolled: 1-line block ×4, first 2 shown]
	v_add_f64_e32 v[0:1], v[28:29], v[24:25]
	v_add_f64_e32 v[2:3], v[30:31], v[26:27]
	v_add_f64_e64 v[20:21], v[24:25], -v[12:13]
	v_add_f64_e64 v[22:23], v[26:27], -v[14:15]
	;; [unrolled: 1-line block ×6, first 2 shown]
	v_add_f64_e32 v[4:5], v[16:17], v[4:5]
	v_add_f64_e32 v[6:7], v[18:19], v[6:7]
	v_add_f64_e64 v[16:17], v[8:9], -v[16:17]
	v_add_f64_e64 v[18:19], v[10:11], -v[18:19]
	;; [unrolled: 1-line block ×4, first 2 shown]
	v_add_f64_e32 v[40:41], v[12:13], v[0:1]
	v_add_f64_e32 v[42:43], v[14:15], v[2:3]
	v_add_f64_e64 v[12:13], v[12:13], -v[28:29]
	v_add_f64_e64 v[14:15], v[14:15], -v[30:31]
	ds_load_b128 v[0:3], v245
	v_mul_f64_e32 v[20:21], s[6:7], v[20:21]
	v_mul_f64_e32 v[22:23], s[6:7], v[22:23]
	;; [unrolled: 1-line block ×6, first 2 shown]
	v_add_f64_e32 v[4:5], v[4:5], v[8:9]
	v_add_f64_e32 v[6:7], v[6:7], v[10:11]
	global_wb scope:SCOPE_SE
	s_wait_dscnt 0x0
	s_barrier_signal -1
	s_barrier_wait -1
	global_inv scope:SCOPE_SE
	v_add_f64_e32 v[0:1], v[0:1], v[40:41]
	v_add_f64_e32 v[2:3], v[2:3], v[42:43]
	v_mul_f64_e32 v[28:29], s[14:15], v[12:13]
	v_mul_f64_e32 v[30:31], s[14:15], v[14:15]
	v_fma_f64 v[8:9], v[12:13], s[14:15], v[20:21]
	v_fma_f64 v[10:11], v[14:15], s[14:15], v[22:23]
	;; [unrolled: 1-line block ×4, first 2 shown]
	v_fma_f64 v[32:33], v[36:37], s[4:5], -v[32:33]
	v_fma_f64 v[34:35], v[38:39], s[4:5], -v[34:35]
	s_wait_alu 0xfffe
	v_fma_f64 v[16:17], v[16:17], s[24:25], -v[68:69]
	v_fma_f64 v[18:19], v[18:19], s[24:25], -v[70:71]
	;; [unrolled: 1-line block ×4, first 2 shown]
	v_fma_f64 v[36:37], v[40:41], s[16:17], v[0:1]
	v_fma_f64 v[38:39], v[42:43], s[16:17], v[2:3]
	v_fma_f64 v[24:25], v[24:25], s[18:19], -v[28:29]
	v_fma_f64 v[26:27], v[26:27], s[18:19], -v[30:31]
	v_fma_f64 v[28:29], v[4:5], s[26:27], v[12:13]
	v_fma_f64 v[30:31], v[6:7], s[26:27], v[14:15]
	;; [unrolled: 1-line block ×6, first 2 shown]
	v_add_f64_e32 v[68:69], v[8:9], v[36:37]
	v_add_f64_e32 v[70:71], v[10:11], v[38:39]
	;; [unrolled: 1-line block ×7, first 2 shown]
	v_add_f64_e64 v[6:7], v[70:71], -v[28:29]
	v_add_f64_e32 v[8:9], v[42:43], v[20:21]
	v_add_f64_e64 v[10:11], v[22:23], -v[40:41]
	v_add_f64_e64 v[12:13], v[16:17], -v[34:35]
	v_add_f64_e32 v[14:15], v[32:33], v[18:19]
	v_add_f64_e32 v[16:17], v[34:35], v[16:17]
	v_add_f64_e64 v[18:19], v[18:19], -v[32:33]
	v_add_f64_e64 v[20:21], v[20:21], -v[42:43]
	v_add_f64_e32 v[22:23], v[40:41], v[22:23]
	v_add_f64_e64 v[24:25], v[68:69], -v[30:31]
	v_add_f64_e32 v[26:27], v[28:29], v[70:71]
	ds_store_b128 v107, v[0:3]
	ds_store_b128 v107, v[4:7] offset:208
	ds_store_b128 v107, v[8:11] offset:416
	;; [unrolled: 1-line block ×6, first 2 shown]
	global_wb scope:SCOPE_SE
	s_wait_dscnt 0x0
	s_barrier_signal -1
	s_barrier_wait -1
	global_inv scope:SCOPE_SE
	ds_load_b128 v[0:3], v245 offset:1456
	ds_load_b128 v[4:7], v245 offset:2912
	;; [unrolled: 1-line block ×6, first 2 shown]
	s_wait_dscnt 0x5
	v_mul_f64_e32 v[24:25], v[50:51], v[2:3]
	v_mul_f64_e32 v[26:27], v[50:51], v[0:1]
	s_wait_dscnt 0x4
	v_mul_f64_e32 v[28:29], v[46:47], v[6:7]
	v_mul_f64_e32 v[30:31], v[46:47], v[4:5]
	;; [unrolled: 3-line block ×6, first 2 shown]
	v_fma_f64 v[0:1], v[48:49], v[0:1], v[24:25]
	v_fma_f64 v[2:3], v[48:49], v[2:3], -v[26:27]
	v_fma_f64 v[4:5], v[44:45], v[4:5], v[28:29]
	v_fma_f64 v[6:7], v[44:45], v[6:7], -v[30:31]
	;; [unrolled: 2-line block ×6, first 2 shown]
	v_add_f64_e32 v[24:25], v[0:1], v[8:9]
	v_add_f64_e32 v[26:27], v[2:3], v[10:11]
	;; [unrolled: 1-line block ×4, first 2 shown]
	v_add_f64_e64 v[4:5], v[4:5], -v[12:13]
	v_add_f64_e64 v[6:7], v[6:7], -v[14:15]
	v_add_f64_e32 v[12:13], v[16:17], v[20:21]
	v_add_f64_e32 v[14:15], v[18:19], v[22:23]
	v_add_f64_e64 v[16:17], v[20:21], -v[16:17]
	v_add_f64_e64 v[18:19], v[22:23], -v[18:19]
	;; [unrolled: 1-line block ×4, first 2 shown]
	v_add_f64_e32 v[0:1], v[28:29], v[24:25]
	v_add_f64_e32 v[2:3], v[30:31], v[26:27]
	v_add_f64_e64 v[20:21], v[24:25], -v[12:13]
	v_add_f64_e64 v[22:23], v[26:27], -v[14:15]
	;; [unrolled: 1-line block ×6, first 2 shown]
	v_add_f64_e32 v[4:5], v[16:17], v[4:5]
	v_add_f64_e32 v[6:7], v[18:19], v[6:7]
	v_add_f64_e64 v[16:17], v[8:9], -v[16:17]
	v_add_f64_e64 v[18:19], v[10:11], -v[18:19]
	;; [unrolled: 1-line block ×4, first 2 shown]
	v_add_f64_e32 v[40:41], v[12:13], v[0:1]
	v_add_f64_e32 v[42:43], v[14:15], v[2:3]
	v_add_f64_e64 v[12:13], v[12:13], -v[28:29]
	v_add_f64_e64 v[14:15], v[14:15], -v[30:31]
	ds_load_b128 v[0:3], v245
	v_mul_f64_e32 v[20:21], s[6:7], v[20:21]
	v_mul_f64_e32 v[22:23], s[6:7], v[22:23]
	;; [unrolled: 1-line block ×6, first 2 shown]
	v_add_f64_e32 v[4:5], v[4:5], v[8:9]
	v_add_f64_e32 v[6:7], v[6:7], v[10:11]
	s_wait_dscnt 0x0
	v_add_f64_e32 v[0:1], v[0:1], v[40:41]
	v_add_f64_e32 v[2:3], v[2:3], v[42:43]
	v_mul_f64_e32 v[28:29], s[14:15], v[12:13]
	v_mul_f64_e32 v[30:31], s[14:15], v[14:15]
	v_fma_f64 v[8:9], v[12:13], s[14:15], v[20:21]
	v_fma_f64 v[10:11], v[14:15], s[14:15], v[22:23]
	v_fma_f64 v[12:13], v[16:17], s[22:23], v[32:33]
	v_fma_f64 v[14:15], v[18:19], s[22:23], v[34:35]
	v_fma_f64 v[32:33], v[36:37], s[4:5], -v[32:33]
	v_fma_f64 v[34:35], v[38:39], s[4:5], -v[34:35]
	v_fma_f64 v[16:17], v[16:17], s[24:25], -v[44:45]
	v_fma_f64 v[18:19], v[18:19], s[24:25], -v[46:47]
	v_fma_f64 v[20:21], v[24:25], s[20:21], -v[20:21]
	v_fma_f64 v[22:23], v[26:27], s[20:21], -v[22:23]
	v_fma_f64 v[36:37], v[40:41], s[16:17], v[0:1]
	v_fma_f64 v[38:39], v[42:43], s[16:17], v[2:3]
	v_fma_f64 v[24:25], v[24:25], s[18:19], -v[28:29]
	v_fma_f64 v[26:27], v[26:27], s[18:19], -v[30:31]
	v_fma_f64 v[28:29], v[4:5], s[26:27], v[12:13]
	v_fma_f64 v[30:31], v[6:7], s[26:27], v[14:15]
	;; [unrolled: 1-line block ×6, first 2 shown]
	v_add_f64_e32 v[44:45], v[8:9], v[36:37]
	v_add_f64_e32 v[46:47], v[10:11], v[38:39]
	;; [unrolled: 1-line block ×7, first 2 shown]
	v_add_f64_e64 v[6:7], v[46:47], -v[28:29]
	v_add_f64_e32 v[8:9], v[42:43], v[20:21]
	v_add_f64_e64 v[10:11], v[22:23], -v[40:41]
	v_add_f64_e64 v[12:13], v[16:17], -v[34:35]
	v_add_f64_e32 v[14:15], v[32:33], v[18:19]
	v_add_f64_e32 v[16:17], v[34:35], v[16:17]
	v_add_f64_e64 v[18:19], v[18:19], -v[32:33]
	v_add_f64_e64 v[20:21], v[20:21], -v[42:43]
	v_add_f64_e32 v[22:23], v[40:41], v[22:23]
	v_add_f64_e64 v[24:25], v[44:45], -v[30:31]
	v_add_f64_e32 v[26:27], v[28:29], v[46:47]
	ds_store_b128 v245, v[0:3]
	ds_store_b128 v245, v[4:7] offset:1456
	ds_store_b128 v245, v[8:11] offset:2912
	;; [unrolled: 1-line block ×6, first 2 shown]
	global_wb scope:SCOPE_SE
	s_wait_dscnt 0x0
	s_barrier_signal -1
	s_barrier_wait -1
	global_inv scope:SCOPE_SE
	s_and_b32 exec_lo, exec_lo, vcc_lo
	s_cbranch_execz .LBB0_15
; %bb.14:
	s_clause 0xb
	global_load_b128 v[0:3], v245, s[8:9]
	global_load_b128 v[4:7], v245, s[8:9] offset:784
	global_load_b128 v[8:11], v245, s[8:9] offset:1568
	;; [unrolled: 1-line block ×11, first 2 shown]
	v_mad_co_u64_u32 v[88:89], null, s2, v100, 0
	v_mad_co_u64_u32 v[101:102], null, s0, v246, 0
	s_delay_alu instid0(VALU_DEP_2) | instskip(NEXT) | instid1(VALU_DEP_2)
	v_mov_b32_e32 v48, v89
	v_mov_b32_e32 v64, v102
	s_delay_alu instid0(VALU_DEP_2)
	v_mad_co_u64_u32 v[72:73], null, s3, v100, v[48:49]
	ds_load_b128 v[48:51], v245
	ds_load_b128 v[52:55], v245 offset:784
	ds_load_b128 v[56:59], v245 offset:1568
	;; [unrolled: 1-line block ×3, first 2 shown]
	v_mad_co_u64_u32 v[90:91], null, s1, v246, v[64:65]
	ds_load_b128 v[64:67], v245 offset:3136
	ds_load_b128 v[68:71], v245 offset:3920
	s_mul_u64 s[0:1], s[0:1], 0x310
	s_mov_b32 s2, 0xf5262dd1
	v_mov_b32_e32 v89, v72
	ds_load_b128 v[72:75], v245 offset:4704
	ds_load_b128 v[76:79], v245 offset:5488
	;; [unrolled: 1-line block ×4, first 2 shown]
	s_mov_b32 s3, 0x3f59b876
	v_mov_b32_e32 v102, v90
	v_lshlrev_b64_e32 v[103:104], 4, v[88:89]
	ds_load_b128 v[88:91], v245 offset:7840
	ds_load_b128 v[92:95], v245 offset:8624
	;; [unrolled: 1-line block ×3, first 2 shown]
	v_lshlrev_b64_e32 v[100:101], 4, v[101:102]
	v_add_co_u32 v126, vcc_lo, s12, v103
	v_add_co_ci_u32_e32 v127, vcc_lo, s13, v104, vcc_lo
	s_delay_alu instid0(VALU_DEP_2) | instskip(SKIP_1) | instid1(VALU_DEP_2)
	v_add_co_u32 v100, vcc_lo, v126, v100
	s_wait_alu 0xfffd
	v_add_co_ci_u32_e32 v101, vcc_lo, v127, v101, vcc_lo
	s_wait_alu 0xfffe
	s_delay_alu instid0(VALU_DEP_2) | instskip(SKIP_1) | instid1(VALU_DEP_2)
	v_add_co_u32 v126, vcc_lo, v100, s0
	s_wait_alu 0xfffd
	v_add_co_ci_u32_e32 v127, vcc_lo, s1, v101, vcc_lo
	s_delay_alu instid0(VALU_DEP_2) | instskip(SKIP_1) | instid1(VALU_DEP_2)
	v_add_co_u32 v128, vcc_lo, v126, s0
	s_wait_alu 0xfffd
	v_add_co_ci_u32_e32 v129, vcc_lo, s1, v127, vcc_lo
	s_wait_loadcnt_dscnt 0xb0c
	v_mul_f64_e32 v[102:103], v[50:51], v[2:3]
	v_mul_f64_e32 v[2:3], v[48:49], v[2:3]
	s_wait_loadcnt_dscnt 0xa0b
	v_mul_f64_e32 v[104:105], v[54:55], v[6:7]
	v_mul_f64_e32 v[6:7], v[52:53], v[6:7]
	;; [unrolled: 3-line block ×12, first 2 shown]
	v_fma_f64 v[48:49], v[48:49], v[0:1], v[102:103]
	v_fma_f64 v[2:3], v[0:1], v[50:51], -v[2:3]
	v_fma_f64 v[50:51], v[52:53], v[4:5], v[104:105]
	v_fma_f64 v[6:7], v[4:5], v[54:55], -v[6:7]
	;; [unrolled: 2-line block ×12, first 2 shown]
	v_add_co_u32 v72, vcc_lo, v128, s0
	s_wait_alu 0xfffd
	v_add_co_ci_u32_e32 v73, vcc_lo, s1, v129, vcc_lo
	s_delay_alu instid0(VALU_DEP_2) | instskip(SKIP_1) | instid1(VALU_DEP_2)
	v_add_co_u32 v74, vcc_lo, v72, s0
	s_wait_alu 0xfffd
	v_add_co_ci_u32_e32 v75, vcc_lo, s1, v73, vcc_lo
	s_delay_alu instid0(VALU_DEP_2) | instskip(SKIP_1) | instid1(VALU_DEP_2)
	v_add_co_u32 v76, vcc_lo, v74, s0
	s_wait_alu 0xfffd
	v_add_co_ci_u32_e32 v77, vcc_lo, s1, v75, vcc_lo
	v_mul_f64_e32 v[0:1], s[2:3], v[48:49]
	v_mul_f64_e32 v[2:3], s[2:3], v[2:3]
	;; [unrolled: 1-line block ×24, first 2 shown]
	v_add_co_u32 v48, vcc_lo, v76, s0
	s_wait_alu 0xfffd
	v_add_co_ci_u32_e32 v49, vcc_lo, s1, v77, vcc_lo
	s_delay_alu instid0(VALU_DEP_2) | instskip(SKIP_1) | instid1(VALU_DEP_2)
	v_add_co_u32 v50, vcc_lo, v48, s0
	s_wait_alu 0xfffd
	v_add_co_ci_u32_e32 v51, vcc_lo, s1, v49, vcc_lo
	s_delay_alu instid0(VALU_DEP_2) | instskip(SKIP_1) | instid1(VALU_DEP_2)
	;; [unrolled: 4-line block ×5, first 2 shown]
	v_add_co_u32 v58, vcc_lo, v56, s0
	s_wait_alu 0xfffd
	v_add_co_ci_u32_e32 v59, vcc_lo, s1, v57, vcc_lo
	s_clause 0x4
	global_store_b128 v[100:101], v[0:3], off
	global_store_b128 v[126:127], v[4:7], off
	;; [unrolled: 1-line block ×12, first 2 shown]
	global_load_b128 v[0:3], v245, s[8:9] offset:9408
	s_wait_loadcnt_dscnt 0x0
	v_mul_f64_e32 v[4:5], v[98:99], v[2:3]
	v_mul_f64_e32 v[2:3], v[96:97], v[2:3]
	s_delay_alu instid0(VALU_DEP_2) | instskip(NEXT) | instid1(VALU_DEP_2)
	v_fma_f64 v[4:5], v[96:97], v[0:1], v[4:5]
	v_fma_f64 v[2:3], v[0:1], v[98:99], -v[2:3]
	s_delay_alu instid0(VALU_DEP_2) | instskip(NEXT) | instid1(VALU_DEP_2)
	v_mul_f64_e32 v[0:1], s[2:3], v[4:5]
	v_mul_f64_e32 v[2:3], s[2:3], v[2:3]
	v_add_co_u32 v4, vcc_lo, v58, s0
	s_wait_alu 0xfffd
	v_add_co_ci_u32_e32 v5, vcc_lo, s1, v59, vcc_lo
	global_store_b128 v[4:5], v[0:3], off
.LBB0_15:
	s_nop 0
	s_sendmsg sendmsg(MSG_DEALLOC_VGPRS)
	s_endpgm
	.section	.rodata,"a",@progbits
	.p2align	6, 0x0
	.amdhsa_kernel bluestein_single_back_len637_dim1_dp_op_CI_CI
		.amdhsa_group_segment_fixed_size 10192
		.amdhsa_private_segment_fixed_size 20
		.amdhsa_kernarg_size 104
		.amdhsa_user_sgpr_count 2
		.amdhsa_user_sgpr_dispatch_ptr 0
		.amdhsa_user_sgpr_queue_ptr 0
		.amdhsa_user_sgpr_kernarg_segment_ptr 1
		.amdhsa_user_sgpr_dispatch_id 0
		.amdhsa_user_sgpr_private_segment_size 0
		.amdhsa_wavefront_size32 1
		.amdhsa_uses_dynamic_stack 0
		.amdhsa_enable_private_segment 1
		.amdhsa_system_sgpr_workgroup_id_x 1
		.amdhsa_system_sgpr_workgroup_id_y 0
		.amdhsa_system_sgpr_workgroup_id_z 0
		.amdhsa_system_sgpr_workgroup_info 0
		.amdhsa_system_vgpr_workitem_id 0
		.amdhsa_next_free_vgpr 255
		.amdhsa_next_free_sgpr 40
		.amdhsa_reserve_vcc 1
		.amdhsa_float_round_mode_32 0
		.amdhsa_float_round_mode_16_64 0
		.amdhsa_float_denorm_mode_32 3
		.amdhsa_float_denorm_mode_16_64 3
		.amdhsa_fp16_overflow 0
		.amdhsa_workgroup_processor_mode 1
		.amdhsa_memory_ordered 1
		.amdhsa_forward_progress 0
		.amdhsa_round_robin_scheduling 0
		.amdhsa_exception_fp_ieee_invalid_op 0
		.amdhsa_exception_fp_denorm_src 0
		.amdhsa_exception_fp_ieee_div_zero 0
		.amdhsa_exception_fp_ieee_overflow 0
		.amdhsa_exception_fp_ieee_underflow 0
		.amdhsa_exception_fp_ieee_inexact 0
		.amdhsa_exception_int_div_zero 0
	.end_amdhsa_kernel
	.text
.Lfunc_end0:
	.size	bluestein_single_back_len637_dim1_dp_op_CI_CI, .Lfunc_end0-bluestein_single_back_len637_dim1_dp_op_CI_CI
                                        ; -- End function
	.section	.AMDGPU.csdata,"",@progbits
; Kernel info:
; codeLenInByte = 13548
; NumSgprs: 42
; NumVgprs: 255
; ScratchSize: 20
; MemoryBound: 0
; FloatMode: 240
; IeeeMode: 1
; LDSByteSize: 10192 bytes/workgroup (compile time only)
; SGPRBlocks: 5
; VGPRBlocks: 31
; NumSGPRsForWavesPerEU: 42
; NumVGPRsForWavesPerEU: 255
; Occupancy: 5
; WaveLimiterHint : 1
; COMPUTE_PGM_RSRC2:SCRATCH_EN: 1
; COMPUTE_PGM_RSRC2:USER_SGPR: 2
; COMPUTE_PGM_RSRC2:TRAP_HANDLER: 0
; COMPUTE_PGM_RSRC2:TGID_X_EN: 1
; COMPUTE_PGM_RSRC2:TGID_Y_EN: 0
; COMPUTE_PGM_RSRC2:TGID_Z_EN: 0
; COMPUTE_PGM_RSRC2:TIDIG_COMP_CNT: 0
	.text
	.p2alignl 7, 3214868480
	.fill 96, 4, 3214868480
	.type	__hip_cuid_320bea38848dcede,@object ; @__hip_cuid_320bea38848dcede
	.section	.bss,"aw",@nobits
	.globl	__hip_cuid_320bea38848dcede
__hip_cuid_320bea38848dcede:
	.byte	0                               ; 0x0
	.size	__hip_cuid_320bea38848dcede, 1

	.ident	"AMD clang version 19.0.0git (https://github.com/RadeonOpenCompute/llvm-project roc-6.4.0 25133 c7fe45cf4b819c5991fe208aaa96edf142730f1d)"
	.section	".note.GNU-stack","",@progbits
	.addrsig
	.addrsig_sym __hip_cuid_320bea38848dcede
	.amdgpu_metadata
---
amdhsa.kernels:
  - .args:
      - .actual_access:  read_only
        .address_space:  global
        .offset:         0
        .size:           8
        .value_kind:     global_buffer
      - .actual_access:  read_only
        .address_space:  global
        .offset:         8
        .size:           8
        .value_kind:     global_buffer
      - .actual_access:  read_only
        .address_space:  global
        .offset:         16
        .size:           8
        .value_kind:     global_buffer
      - .actual_access:  read_only
        .address_space:  global
        .offset:         24
        .size:           8
        .value_kind:     global_buffer
      - .actual_access:  read_only
        .address_space:  global
        .offset:         32
        .size:           8
        .value_kind:     global_buffer
      - .offset:         40
        .size:           8
        .value_kind:     by_value
      - .address_space:  global
        .offset:         48
        .size:           8
        .value_kind:     global_buffer
      - .address_space:  global
        .offset:         56
        .size:           8
        .value_kind:     global_buffer
      - .address_space:  global
        .offset:         64
        .size:           8
        .value_kind:     global_buffer
      - .address_space:  global
        .offset:         72
        .size:           8
        .value_kind:     global_buffer
      - .offset:         80
        .size:           4
        .value_kind:     by_value
      - .address_space:  global
        .offset:         88
        .size:           8
        .value_kind:     global_buffer
      - .address_space:  global
        .offset:         96
        .size:           8
        .value_kind:     global_buffer
    .group_segment_fixed_size: 10192
    .kernarg_segment_align: 8
    .kernarg_segment_size: 104
    .language:       OpenCL C
    .language_version:
      - 2
      - 0
    .max_flat_workgroup_size: 91
    .name:           bluestein_single_back_len637_dim1_dp_op_CI_CI
    .private_segment_fixed_size: 20
    .sgpr_count:     42
    .sgpr_spill_count: 0
    .symbol:         bluestein_single_back_len637_dim1_dp_op_CI_CI.kd
    .uniform_work_group_size: 1
    .uses_dynamic_stack: false
    .vgpr_count:     255
    .vgpr_spill_count: 4
    .wavefront_size: 32
    .workgroup_processor_mode: 1
amdhsa.target:   amdgcn-amd-amdhsa--gfx1201
amdhsa.version:
  - 1
  - 2
...

	.end_amdgpu_metadata
